;; amdgpu-corpus repo=ROCm/rocFFT kind=compiled arch=gfx1030 opt=O3
	.text
	.amdgcn_target "amdgcn-amd-amdhsa--gfx1030"
	.amdhsa_code_object_version 6
	.protected	fft_rtc_back_len816_factors_17_2_3_2_2_2_wgs_51_tpt_51_halfLds_dp_ip_CI_unitstride_sbrr_dirReg ; -- Begin function fft_rtc_back_len816_factors_17_2_3_2_2_2_wgs_51_tpt_51_halfLds_dp_ip_CI_unitstride_sbrr_dirReg
	.globl	fft_rtc_back_len816_factors_17_2_3_2_2_2_wgs_51_tpt_51_halfLds_dp_ip_CI_unitstride_sbrr_dirReg
	.p2align	8
	.type	fft_rtc_back_len816_factors_17_2_3_2_2_2_wgs_51_tpt_51_halfLds_dp_ip_CI_unitstride_sbrr_dirReg,@function
fft_rtc_back_len816_factors_17_2_3_2_2_2_wgs_51_tpt_51_halfLds_dp_ip_CI_unitstride_sbrr_dirReg: ; @fft_rtc_back_len816_factors_17_2_3_2_2_2_wgs_51_tpt_51_halfLds_dp_ip_CI_unitstride_sbrr_dirReg
; %bb.0:
	s_clause 0x2
	s_load_dwordx4 s[8:11], s[4:5], 0x0
	s_load_dwordx2 s[2:3], s[4:5], 0x50
	s_load_dwordx2 s[12:13], s[4:5], 0x18
	v_mul_u32_u24_e32 v1, 0x506, v0
	v_mov_b32_e32 v3, 0
	v_add_nc_u32_sdwa v5, s6, v1 dst_sel:DWORD dst_unused:UNUSED_PAD src0_sel:DWORD src1_sel:WORD_1
	v_mov_b32_e32 v1, 0
	v_mov_b32_e32 v6, v3
	v_mov_b32_e32 v2, 0
	s_waitcnt lgkmcnt(0)
	v_cmp_lt_u64_e64 s0, s[10:11], 2
	s_and_b32 vcc_lo, exec_lo, s0
	s_cbranch_vccnz .LBB0_8
; %bb.1:
	s_load_dwordx2 s[0:1], s[4:5], 0x10
	v_mov_b32_e32 v1, 0
	s_add_u32 s6, s12, 8
	v_mov_b32_e32 v2, 0
	s_addc_u32 s7, s13, 0
	s_mov_b64 s[16:17], 1
	s_waitcnt lgkmcnt(0)
	s_add_u32 s14, s0, 8
	s_addc_u32 s15, s1, 0
.LBB0_2:                                ; =>This Inner Loop Header: Depth=1
	s_load_dwordx2 s[18:19], s[14:15], 0x0
                                        ; implicit-def: $vgpr7_vgpr8
	s_mov_b32 s0, exec_lo
	s_waitcnt lgkmcnt(0)
	v_or_b32_e32 v4, s19, v6
	v_cmpx_ne_u64_e32 0, v[3:4]
	s_xor_b32 s1, exec_lo, s0
	s_cbranch_execz .LBB0_4
; %bb.3:                                ;   in Loop: Header=BB0_2 Depth=1
	v_cvt_f32_u32_e32 v4, s18
	v_cvt_f32_u32_e32 v7, s19
	s_sub_u32 s0, 0, s18
	s_subb_u32 s20, 0, s19
	v_fmac_f32_e32 v4, 0x4f800000, v7
	v_rcp_f32_e32 v4, v4
	v_mul_f32_e32 v4, 0x5f7ffffc, v4
	v_mul_f32_e32 v7, 0x2f800000, v4
	v_trunc_f32_e32 v7, v7
	v_fmac_f32_e32 v4, 0xcf800000, v7
	v_cvt_u32_f32_e32 v7, v7
	v_cvt_u32_f32_e32 v4, v4
	v_mul_lo_u32 v8, s0, v7
	v_mul_hi_u32 v9, s0, v4
	v_mul_lo_u32 v10, s20, v4
	v_add_nc_u32_e32 v8, v9, v8
	v_mul_lo_u32 v9, s0, v4
	v_add_nc_u32_e32 v8, v8, v10
	v_mul_hi_u32 v10, v4, v9
	v_mul_lo_u32 v11, v4, v8
	v_mul_hi_u32 v12, v4, v8
	v_mul_hi_u32 v13, v7, v9
	v_mul_lo_u32 v9, v7, v9
	v_mul_hi_u32 v14, v7, v8
	v_mul_lo_u32 v8, v7, v8
	v_add_co_u32 v10, vcc_lo, v10, v11
	v_add_co_ci_u32_e32 v11, vcc_lo, 0, v12, vcc_lo
	v_add_co_u32 v9, vcc_lo, v10, v9
	v_add_co_ci_u32_e32 v9, vcc_lo, v11, v13, vcc_lo
	v_add_co_ci_u32_e32 v10, vcc_lo, 0, v14, vcc_lo
	v_add_co_u32 v8, vcc_lo, v9, v8
	v_add_co_ci_u32_e32 v9, vcc_lo, 0, v10, vcc_lo
	v_add_co_u32 v4, vcc_lo, v4, v8
	v_add_co_ci_u32_e32 v7, vcc_lo, v7, v9, vcc_lo
	v_mul_hi_u32 v8, s0, v4
	v_mul_lo_u32 v10, s20, v4
	v_mul_lo_u32 v9, s0, v7
	v_add_nc_u32_e32 v8, v8, v9
	v_mul_lo_u32 v9, s0, v4
	v_add_nc_u32_e32 v8, v8, v10
	v_mul_hi_u32 v10, v4, v9
	v_mul_lo_u32 v11, v4, v8
	v_mul_hi_u32 v12, v4, v8
	v_mul_hi_u32 v13, v7, v9
	v_mul_lo_u32 v9, v7, v9
	v_mul_hi_u32 v14, v7, v8
	v_mul_lo_u32 v8, v7, v8
	v_add_co_u32 v10, vcc_lo, v10, v11
	v_add_co_ci_u32_e32 v11, vcc_lo, 0, v12, vcc_lo
	v_add_co_u32 v9, vcc_lo, v10, v9
	v_add_co_ci_u32_e32 v9, vcc_lo, v11, v13, vcc_lo
	v_add_co_ci_u32_e32 v10, vcc_lo, 0, v14, vcc_lo
	v_add_co_u32 v8, vcc_lo, v9, v8
	v_add_co_ci_u32_e32 v9, vcc_lo, 0, v10, vcc_lo
	v_add_co_u32 v4, vcc_lo, v4, v8
	v_add_co_ci_u32_e32 v11, vcc_lo, v7, v9, vcc_lo
	v_mul_hi_u32 v13, v5, v4
	v_mad_u64_u32 v[9:10], null, v6, v4, 0
	v_mad_u64_u32 v[7:8], null, v5, v11, 0
	;; [unrolled: 1-line block ×3, first 2 shown]
	v_add_co_u32 v4, vcc_lo, v13, v7
	v_add_co_ci_u32_e32 v7, vcc_lo, 0, v8, vcc_lo
	v_add_co_u32 v4, vcc_lo, v4, v9
	v_add_co_ci_u32_e32 v4, vcc_lo, v7, v10, vcc_lo
	v_add_co_ci_u32_e32 v7, vcc_lo, 0, v12, vcc_lo
	v_add_co_u32 v4, vcc_lo, v4, v11
	v_add_co_ci_u32_e32 v9, vcc_lo, 0, v7, vcc_lo
	v_mul_lo_u32 v10, s19, v4
	v_mad_u64_u32 v[7:8], null, s18, v4, 0
	v_mul_lo_u32 v11, s18, v9
	v_sub_co_u32 v7, vcc_lo, v5, v7
	v_add3_u32 v8, v8, v11, v10
	v_sub_nc_u32_e32 v10, v6, v8
	v_subrev_co_ci_u32_e64 v10, s0, s19, v10, vcc_lo
	v_add_co_u32 v11, s0, v4, 2
	v_add_co_ci_u32_e64 v12, s0, 0, v9, s0
	v_sub_co_u32 v13, s0, v7, s18
	v_sub_co_ci_u32_e32 v8, vcc_lo, v6, v8, vcc_lo
	v_subrev_co_ci_u32_e64 v10, s0, 0, v10, s0
	v_cmp_le_u32_e32 vcc_lo, s18, v13
	v_cmp_eq_u32_e64 s0, s19, v8
	v_cndmask_b32_e64 v13, 0, -1, vcc_lo
	v_cmp_le_u32_e32 vcc_lo, s19, v10
	v_cndmask_b32_e64 v14, 0, -1, vcc_lo
	v_cmp_le_u32_e32 vcc_lo, s18, v7
	;; [unrolled: 2-line block ×3, first 2 shown]
	v_cndmask_b32_e64 v15, 0, -1, vcc_lo
	v_cmp_eq_u32_e32 vcc_lo, s19, v10
	v_cndmask_b32_e64 v7, v15, v7, s0
	v_cndmask_b32_e32 v10, v14, v13, vcc_lo
	v_add_co_u32 v13, vcc_lo, v4, 1
	v_add_co_ci_u32_e32 v14, vcc_lo, 0, v9, vcc_lo
	v_cmp_ne_u32_e32 vcc_lo, 0, v10
	v_cndmask_b32_e32 v8, v14, v12, vcc_lo
	v_cndmask_b32_e32 v10, v13, v11, vcc_lo
	v_cmp_ne_u32_e32 vcc_lo, 0, v7
	v_cndmask_b32_e32 v8, v9, v8, vcc_lo
	v_cndmask_b32_e32 v7, v4, v10, vcc_lo
.LBB0_4:                                ;   in Loop: Header=BB0_2 Depth=1
	s_andn2_saveexec_b32 s0, s1
	s_cbranch_execz .LBB0_6
; %bb.5:                                ;   in Loop: Header=BB0_2 Depth=1
	v_cvt_f32_u32_e32 v4, s18
	s_sub_i32 s1, 0, s18
	v_rcp_iflag_f32_e32 v4, v4
	v_mul_f32_e32 v4, 0x4f7ffffe, v4
	v_cvt_u32_f32_e32 v4, v4
	v_mul_lo_u32 v7, s1, v4
	v_mul_hi_u32 v7, v4, v7
	v_add_nc_u32_e32 v4, v4, v7
	v_mul_hi_u32 v4, v5, v4
	v_mul_lo_u32 v7, v4, s18
	v_add_nc_u32_e32 v8, 1, v4
	v_sub_nc_u32_e32 v7, v5, v7
	v_subrev_nc_u32_e32 v9, s18, v7
	v_cmp_le_u32_e32 vcc_lo, s18, v7
	v_cndmask_b32_e32 v7, v7, v9, vcc_lo
	v_cndmask_b32_e32 v4, v4, v8, vcc_lo
	v_cmp_le_u32_e32 vcc_lo, s18, v7
	v_add_nc_u32_e32 v8, 1, v4
	v_cndmask_b32_e32 v7, v4, v8, vcc_lo
	v_mov_b32_e32 v8, v3
.LBB0_6:                                ;   in Loop: Header=BB0_2 Depth=1
	s_or_b32 exec_lo, exec_lo, s0
	s_load_dwordx2 s[0:1], s[6:7], 0x0
	v_mul_lo_u32 v4, v8, s18
	v_mul_lo_u32 v11, v7, s19
	v_mad_u64_u32 v[9:10], null, v7, s18, 0
	s_add_u32 s16, s16, 1
	s_addc_u32 s17, s17, 0
	s_add_u32 s6, s6, 8
	s_addc_u32 s7, s7, 0
	;; [unrolled: 2-line block ×3, first 2 shown]
	v_add3_u32 v4, v10, v11, v4
	v_sub_co_u32 v5, vcc_lo, v5, v9
	v_sub_co_ci_u32_e32 v4, vcc_lo, v6, v4, vcc_lo
	s_waitcnt lgkmcnt(0)
	v_mul_lo_u32 v6, s1, v5
	v_mul_lo_u32 v4, s0, v4
	v_mad_u64_u32 v[1:2], null, s0, v5, v[1:2]
	v_cmp_ge_u64_e64 s0, s[16:17], s[10:11]
	s_and_b32 vcc_lo, exec_lo, s0
	v_add3_u32 v2, v6, v2, v4
	s_cbranch_vccnz .LBB0_9
; %bb.7:                                ;   in Loop: Header=BB0_2 Depth=1
	v_mov_b32_e32 v5, v7
	v_mov_b32_e32 v6, v8
	s_branch .LBB0_2
.LBB0_8:
	v_mov_b32_e32 v8, v6
	v_mov_b32_e32 v7, v5
.LBB0_9:
	s_lshl_b64 s[0:1], s[10:11], 3
	v_mul_hi_u32 v3, 0x5050506, v0
	s_add_u32 s0, s12, s0
	s_addc_u32 s1, s13, s1
                                        ; implicit-def: $vgpr10_vgpr11
                                        ; implicit-def: $vgpr14_vgpr15
                                        ; implicit-def: $vgpr18_vgpr19
                                        ; implicit-def: $vgpr22_vgpr23
                                        ; implicit-def: $vgpr30_vgpr31
                                        ; implicit-def: $vgpr34_vgpr35
                                        ; implicit-def: $vgpr26_vgpr27
                                        ; implicit-def: $vgpr38_vgpr39
                                        ; implicit-def: $vgpr42_vgpr43
                                        ; implicit-def: $vgpr50_vgpr51
                                        ; implicit-def: $vgpr46_vgpr47
                                        ; implicit-def: $vgpr54_vgpr55
                                        ; implicit-def: $vgpr58_vgpr59
                                        ; implicit-def: $vgpr62_vgpr63
                                        ; implicit-def: $vgpr66_vgpr67
	s_load_dwordx2 s[0:1], s[0:1], 0x0
	s_load_dwordx2 s[4:5], s[4:5], 0x20
	v_mul_u32_u24_e32 v3, 51, v3
	v_sub_nc_u32_e32 v124, v0, v3
	s_waitcnt lgkmcnt(0)
	v_mul_lo_u32 v4, s0, v8
	v_mul_lo_u32 v5, s1, v7
	v_mad_u64_u32 v[1:2], null, s0, v7, v[1:2]
	v_cmp_gt_u64_e32 vcc_lo, s[4:5], v[7:8]
	v_cmp_gt_u32_e64 s0, 48, v124
                                        ; implicit-def: $vgpr6_vgpr7
	s_and_b32 s1, vcc_lo, s0
	v_add3_u32 v2, v5, v2, v4
	v_lshlrev_b64 v[126:127], 4, v[1:2]
                                        ; implicit-def: $vgpr2_vgpr3
	s_and_saveexec_b32 s4, s1
	s_cbranch_execz .LBB0_11
; %bb.10:
	v_mov_b32_e32 v125, 0
	v_add_co_u32 v14, s1, s2, v126
	v_add_co_ci_u32_e64 v15, s1, s3, v127, s1
	v_lshlrev_b64 v[0:1], 4, v[124:125]
	v_or_b32_e32 v2, 0xc0, v124
	v_mov_b32_e32 v3, v125
	v_or_b32_e32 v10, 0x180, v124
	v_mov_b32_e32 v11, v125
	v_or_b32_e32 v12, 0x240, v124
	v_add_co_u32 v0, s1, v14, v0
	v_add_co_ci_u32_e64 v1, s1, v15, v1, s1
	v_lshlrev_b64 v[2:3], 4, v[2:3]
	v_add_co_u32 v8, s1, 0x800, v0
	v_add_co_ci_u32_e64 v9, s1, 0, v1, s1
	s_clause 0x1
	global_load_dwordx4 v[4:7], v[0:1], off
	global_load_dwordx4 v[64:67], v[0:1], off offset:768
	v_add_co_u32 v2, s1, v14, v2
	v_add_co_ci_u32_e64 v3, s1, v15, v3, s1
	s_clause 0x3
	global_load_dwordx4 v[60:63], v[0:1], off offset:1536
	global_load_dwordx4 v[56:59], v[8:9], off offset:256
	global_load_dwordx4 v[52:55], v[2:3], off
	global_load_dwordx4 v[44:47], v[8:9], off offset:1792
	v_lshlrev_b64 v[2:3], 4, v[10:11]
	v_add_co_u32 v8, s1, 0x1000, v0
	v_add_co_ci_u32_e64 v9, s1, 0, v1, s1
	v_mov_b32_e32 v13, v125
	v_add_co_u32 v2, s1, v14, v2
	v_add_co_ci_u32_e64 v3, s1, v15, v3, s1
	v_add_co_u32 v10, s1, 0x1800, v0
	v_add_co_ci_u32_e64 v11, s1, 0, v1, s1
	s_clause 0x3
	global_load_dwordx4 v[48:51], v[8:9], off offset:512
	global_load_dwordx4 v[40:43], v[8:9], off offset:1280
	global_load_dwordx4 v[36:39], v[2:3], off
	global_load_dwordx4 v[24:27], v[10:11], off offset:768
	v_lshlrev_b64 v[2:3], 4, v[12:13]
	v_or_b32_e32 v12, 0x300, v124
	v_add_co_u32 v8, s1, 0x2000, v0
	v_add_co_ci_u32_e64 v9, s1, 0, v1, s1
	v_add_co_u32 v2, s1, v14, v2
	v_lshlrev_b64 v[12:13], 4, v[12:13]
	v_add_co_ci_u32_e64 v3, s1, v15, v3, s1
	v_add_co_u32 v0, s1, 0x2800, v0
	v_add_co_ci_u32_e64 v1, s1, 0, v1, s1
	v_add_co_u32 v68, s1, v14, v12
	v_add_co_ci_u32_e64 v69, s1, v15, v13, s1
	s_clause 0x6
	global_load_dwordx4 v[32:35], v[10:11], off offset:1536
	global_load_dwordx4 v[28:31], v[8:9], off offset:256
	global_load_dwordx4 v[20:23], v[2:3], off
	global_load_dwordx4 v[16:19], v[8:9], off offset:1792
	global_load_dwordx4 v[12:15], v[0:1], off offset:512
	global_load_dwordx4 v[8:11], v[0:1], off offset:1280
	global_load_dwordx4 v[0:3], v[68:69], off
.LBB0_11:
	s_or_b32 exec_lo, exec_lo, s4
	s_waitcnt vmcnt(0)
	v_add_f64 v[80:81], v[66:67], -v[2:3]
	s_mov_b32 s14, 0x5d8e7cdc
	s_mov_b32 s15, 0xbfd71e95
	v_add_f64 v[102:103], v[0:1], v[64:65]
	v_add_f64 v[82:83], v[62:63], -v[10:11]
	s_mov_b32 s4, 0x370991
	s_mov_b32 s18, 0x2a9d6da3
	s_mov_b32 s5, 0x3fedd6d0
	s_mov_b32 s19, 0xbfe58eea
	v_add_f64 v[108:109], v[8:9], v[60:61]
	v_add_f64 v[76:77], v[58:59], -v[14:15]
	s_mov_b32 s6, 0x75d4884
	s_mov_b32 s22, 0x7c9e640b
	;; [unrolled: 6-line block ×3, first 2 shown]
	s_mov_b32 s11, 0x3fdc86fa
	s_mov_b32 s25, 0xbfefdd0d
	v_add_f64 v[104:105], v[16:17], v[52:53]
	v_mul_f64 v[98:99], v[80:81], s[14:15]
	v_add_f64 v[72:73], v[46:47], -v[22:23]
	s_mov_b32 s12, 0x3259b75e
	s_mov_b32 s28, 0x923c349f
	v_mul_f64 v[92:93], v[82:83], s[18:19]
	s_mov_b32 s13, 0x3fb79ee6
	s_mov_b32 s29, 0xbfeec746
	v_add_f64 v[112:113], v[20:21], v[44:45]
	s_mov_b32 s16, 0xc61f0d01
	s_mov_b32 s34, 0x6c9a05f6
	v_mul_f64 v[94:95], v[76:77], s[22:23]
	s_mov_b32 s17, 0xbfd183b1
	s_mov_b32 s35, 0xbfe9895b
	v_add_f64 v[106:107], v[28:29], v[48:49]
	;; [unrolled: 6-line block ×3, first 2 shown]
	s_mov_b32 s26, 0x910ea3b9
	s_mov_b32 s38, 0xacd6c6b4
	v_fma_f64 v[68:69], v[102:103], s[4:5], -v[98:99]
	v_mul_f64 v[96:97], v[72:73], s[28:29]
	s_mov_b32 s27, 0xbfeb34fa
	s_mov_b32 s39, 0xbfc7851a
	v_fma_f64 v[74:75], v[108:109], s[6:7], -v[92:93]
	v_add_f64 v[100:101], v[24:25], v[36:37]
	s_mov_b32 s30, 0x7faef3
	s_mov_b32 s31, 0xbfef7484
	v_fma_f64 v[78:79], v[110:111], s[10:11], -v[94:95]
	v_fma_f64 v[84:85], v[104:105], s[12:13], -v[88:89]
	v_add_f64 v[68:69], v[4:5], v[68:69]
	v_fma_f64 v[86:87], v[112:113], s[16:17], -v[96:97]
	v_add_f64 v[68:69], v[74:75], v[68:69]
	v_add_f64 v[74:75], v[50:51], -v[30:31]
	v_add_f64 v[68:69], v[78:79], v[68:69]
	v_add_f64 v[78:79], v[42:43], -v[34:35]
	v_mul_f64 v[90:91], v[74:75], s[34:35]
	v_add_f64 v[68:69], v[84:85], v[68:69]
	v_mul_f64 v[84:85], v[78:79], s[36:37]
	v_fma_f64 v[116:117], v[106:107], s[20:21], -v[90:91]
	v_add_f64 v[86:87], v[86:87], v[68:69]
	v_add_f64 v[68:69], v[38:39], -v[26:27]
	v_fma_f64 v[118:119], v[114:115], s[26:27], -v[84:85]
	v_add_f64 v[116:117], v[116:117], v[86:87]
	v_mul_f64 v[86:87], v[68:69], s[38:39]
	v_add_f64 v[116:117], v[118:119], v[116:117]
	v_fma_f64 v[118:119], v[100:101], s[30:31], -v[86:87]
	v_add_f64 v[128:129], v[118:119], v[116:117]
	s_and_saveexec_b32 s1, s0
	s_cbranch_execz .LBB0_13
; %bb.12:
	v_add_f64 v[132:133], v[64:65], v[4:5]
	v_mul_f64 v[116:117], v[102:103], s[30:31]
	v_mul_f64 v[120:121], v[102:103], s[26:27]
	;; [unrolled: 1-line block ×3, first 2 shown]
	s_mov_b32 s45, 0x3fc7851a
	s_mov_b32 s44, s38
	;; [unrolled: 1-line block ×6, first 2 shown]
	v_mul_f64 v[118:119], v[108:109], s[4:5]
	v_mul_f64 v[130:131], v[108:109], s[10:11]
	;; [unrolled: 1-line block ×5, first 2 shown]
	s_mov_b32 s43, 0x3fd71e95
	s_mov_b32 s42, s14
	;; [unrolled: 1-line block ×7, first 2 shown]
	v_add_f64 v[132:133], v[60:61], v[132:133]
	v_fma_f64 v[140:141], v[80:81], s[44:45], v[116:117]
	v_fma_f64 v[116:117], v[80:81], s[38:39], v[116:117]
	v_fma_f64 v[144:145], v[80:81], s[40:41], v[120:121]
	v_fma_f64 v[120:121], v[80:81], s[36:37], v[120:121]
	v_fma_f64 v[152:153], v[80:81], s[48:49], v[122:123]
	v_fma_f64 v[122:123], v[80:81], s[34:35], v[122:123]
	s_mov_b32 s54, s24
	v_mul_f64 v[142:143], v[108:109], s[26:27]
	v_mul_f64 v[146:147], v[108:109], s[30:31]
	;; [unrolled: 1-line block ×5, first 2 shown]
	v_fma_f64 v[158:159], v[82:83], s[14:15], v[118:119]
	v_fma_f64 v[160:161], v[80:81], s[50:51], v[136:137]
	;; [unrolled: 1-line block ×9, first 2 shown]
	v_add_f64 v[132:133], v[56:57], v[132:133]
	v_add_f64 v[140:141], v[4:5], v[140:141]
	v_add_f64 v[116:117], v[4:5], v[116:117]
	v_add_f64 v[144:145], v[4:5], v[144:145]
	v_add_f64 v[120:121], v[4:5], v[120:121]
	v_add_f64 v[152:153], v[4:5], v[152:153]
	v_add_f64 v[122:123], v[4:5], v[122:123]
	v_mul_f64 v[156:157], v[110:111], s[6:7]
	v_mul_f64 v[164:165], v[110:111], s[16:17]
	;; [unrolled: 1-line block ×4, first 2 shown]
	v_fma_f64 v[174:175], v[82:83], s[36:37], v[142:143]
	v_fma_f64 v[142:143], v[82:83], s[40:41], v[142:143]
	;; [unrolled: 1-line block ×4, first 2 shown]
	v_add_f64 v[160:161], v[4:5], v[160:161]
	v_fma_f64 v[148:149], v[76:77], s[36:37], v[148:149]
	v_add_f64 v[136:137], v[4:5], v[136:137]
	v_add_f64 v[162:163], v[4:5], v[162:163]
	s_mov_b32 s53, 0x3fe58eea
	s_mov_b32 s52, s18
	v_fma_f64 v[138:139], v[80:81], s[24:25], v[138:139]
	v_add_f64 v[132:133], v[52:53], v[132:133]
	v_add_f64 v[140:141], v[158:159], v[140:141]
	v_add_f64 v[116:117], v[118:119], v[116:117]
	v_mul_f64 v[118:119], v[104:105], s[26:27]
	v_fma_f64 v[158:159], v[76:77], s[54:55], v[150:151]
	v_add_f64 v[144:145], v[166:167], v[144:145]
	v_fma_f64 v[150:151], v[76:77], s[24:25], v[150:151]
	v_add_f64 v[120:121], v[130:131], v[120:121]
	;; [unrolled: 2-line block ×4, first 2 shown]
	v_mul_f64 v[166:167], v[104:105], s[10:11]
	v_fma_f64 v[172:173], v[76:77], s[18:19], v[156:157]
	v_fma_f64 v[134:135], v[76:77], s[52:53], v[156:157]
	;; [unrolled: 1-line block ×4, first 2 shown]
	v_add_f64 v[160:161], v[174:175], v[160:161]
	v_fma_f64 v[168:169], v[70:71], s[52:53], v[168:169]
	v_add_f64 v[136:137], v[142:143], v[136:137]
	v_add_f64 v[142:143], v[176:177], v[162:163]
	v_fma_f64 v[162:163], v[70:71], s[34:35], v[170:171]
	v_add_f64 v[132:133], v[44:45], v[132:133]
	v_add_f64 v[140:141], v[178:179], v[140:141]
	;; [unrolled: 1-line block ×3, first 2 shown]
	v_mul_f64 v[148:149], v[112:113], s[20:21]
	v_mul_f64 v[174:175], v[112:113], s[12:13]
	v_add_f64 v[144:145], v[158:159], v[144:145]
	v_mul_f64 v[158:159], v[112:113], s[4:5]
	v_fma_f64 v[170:171], v[70:71], s[48:49], v[170:171]
	v_add_f64 v[120:121], v[150:151], v[120:121]
	v_fma_f64 v[150:151], v[70:71], s[40:41], v[118:119]
	v_add_f64 v[130:131], v[130:131], v[152:153]
	;; [unrolled: 2-line block ×3, first 2 shown]
	v_fma_f64 v[176:177], v[70:71], s[46:47], v[166:167]
	v_fma_f64 v[166:167], v[70:71], s[22:23], v[166:167]
	v_mul_f64 v[180:181], v[104:105], s[4:5]
	v_fma_f64 v[146:147], v[82:83], s[38:39], v[146:147]
	v_add_f64 v[160:161], v[172:173], v[160:161]
	v_add_f64 v[138:139], v[4:5], v[138:139]
	;; [unrolled: 1-line block ×4, first 2 shown]
	v_mul_f64 v[156:157], v[106:107], s[10:11]
	v_add_f64 v[132:133], v[48:49], v[132:133]
	v_add_f64 v[140:141], v[182:183], v[140:141]
	;; [unrolled: 1-line block ×3, first 2 shown]
	v_fma_f64 v[142:143], v[72:73], s[48:49], v[148:149]
	v_fma_f64 v[148:149], v[72:73], s[34:35], v[148:149]
	v_add_f64 v[144:145], v[162:163], v[144:145]
	v_fma_f64 v[162:163], v[72:73], s[42:43], v[158:159]
	v_mul_f64 v[168:169], v[102:103], s[10:11]
	v_add_f64 v[120:121], v[170:171], v[120:121]
	v_fma_f64 v[158:159], v[72:73], s[14:15], v[158:159]
	v_add_f64 v[130:131], v[150:151], v[130:131]
	v_fma_f64 v[150:151], v[72:73], s[24:25], v[174:175]
	v_add_f64 v[118:119], v[118:119], v[122:123]
	v_mul_f64 v[122:123], v[102:103], s[6:7]
	v_mul_f64 v[102:103], v[102:103], s[4:5]
	;; [unrolled: 1-line block ×3, first 2 shown]
	v_fma_f64 v[172:173], v[70:71], s[14:15], v[180:181]
	v_add_f64 v[160:161], v[176:177], v[160:161]
	v_mul_f64 v[176:177], v[106:107], s[30:31]
	v_add_f64 v[134:135], v[166:167], v[134:135]
	v_mul_f64 v[166:167], v[108:109], s[12:13]
	v_add_f64 v[138:139], v[146:147], v[138:139]
	v_add_f64 v[132:133], v[40:41], v[132:133]
	v_fma_f64 v[146:147], v[76:77], s[50:51], v[164:165]
	v_mul_f64 v[154:155], v[112:113], s[10:11]
	v_add_f64 v[140:141], v[142:143], v[140:141]
	v_add_f64 v[116:117], v[148:149], v[116:117]
	v_fma_f64 v[142:143], v[74:75], s[22:23], v[156:157]
	v_add_f64 v[144:145], v[162:163], v[144:145]
	v_fma_f64 v[148:149], v[80:81], s[46:47], v[168:169]
	v_mul_f64 v[162:163], v[108:109], s[20:21]
	v_add_f64 v[120:121], v[158:159], v[120:121]
	v_fma_f64 v[156:157], v[74:75], s[46:47], v[156:157]
	v_add_f64 v[130:131], v[150:151], v[130:131]
	v_fma_f64 v[150:151], v[80:81], s[22:23], v[168:169]
	v_fma_f64 v[158:159], v[80:81], s[52:53], v[122:123]
	;; [unrolled: 1-line block ×3, first 2 shown]
	v_mul_f64 v[108:109], v[108:109], s[6:7]
	v_add_f64 v[98:99], v[98:99], v[102:103]
	v_fma_f64 v[170:171], v[72:73], s[54:55], v[174:175]
	v_fma_f64 v[174:175], v[72:73], s[44:45], v[152:153]
	;; [unrolled: 1-line block ×3, first 2 shown]
	v_add_f64 v[136:137], v[172:173], v[136:137]
	v_fma_f64 v[172:173], v[74:75], s[38:39], v[176:177]
	v_add_f64 v[102:103], v[36:37], v[132:133]
	v_fma_f64 v[168:169], v[74:75], s[44:45], v[176:177]
	v_fma_f64 v[178:179], v[72:73], s[46:47], v[154:155]
	v_mul_f64 v[176:177], v[114:115], s[16:17]
	v_add_f64 v[140:141], v[142:143], v[140:141]
	v_add_f64 v[122:123], v[4:5], v[148:149]
	v_fma_f64 v[142:143], v[82:83], s[48:49], v[162:163]
	v_mul_f64 v[148:149], v[110:111], s[30:31]
	v_add_f64 v[116:117], v[156:157], v[116:117]
	v_fma_f64 v[132:133], v[82:83], s[34:35], v[162:163]
	v_add_f64 v[150:151], v[4:5], v[150:151]
	v_add_f64 v[156:157], v[4:5], v[158:159]
	v_fma_f64 v[158:159], v[82:83], s[54:55], v[166:167]
	v_mul_f64 v[162:163], v[110:111], s[20:21]
	v_fma_f64 v[82:83], v[82:83], s[24:25], v[166:167]
	v_add_f64 v[80:81], v[4:5], v[80:81]
	v_mul_f64 v[110:111], v[110:111], s[10:11]
	v_add_f64 v[92:93], v[92:93], v[108:109]
	v_add_f64 v[4:5], v[4:5], v[98:99]
	v_mul_f64 v[166:167], v[114:115], s[6:7]
	v_add_f64 v[98:99], v[24:25], v[102:103]
	v_mul_f64 v[102:103], v[104:105], s[16:17]
	;; [unrolled: 2-line block ×5, first 2 shown]
	v_add_f64 v[122:123], v[142:143], v[122:123]
	v_fma_f64 v[142:143], v[76:77], s[38:39], v[148:149]
	v_add_f64 v[160:161], v[174:175], v[160:161]
	v_add_f64 v[144:145], v[168:169], v[144:145]
	;; [unrolled: 1-line block ×3, first 2 shown]
	v_fma_f64 v[132:133], v[76:77], s[44:45], v[148:149]
	v_add_f64 v[148:149], v[158:159], v[156:157]
	v_fma_f64 v[150:151], v[76:77], s[48:49], v[162:163]
	v_mul_f64 v[156:157], v[104:105], s[30:31]
	v_fma_f64 v[76:77], v[76:77], s[34:35], v[162:163]
	v_add_f64 v[80:81], v[82:83], v[80:81]
	v_add_f64 v[94:95], v[94:95], v[110:111]
	v_mul_f64 v[104:105], v[104:105], s[12:13]
	v_add_f64 v[4:5], v[92:93], v[4:5]
	v_add_f64 v[92:93], v[32:33], v[98:99]
	;; [unrolled: 1-line block ×3, first 2 shown]
	v_fma_f64 v[138:139], v[70:71], s[42:43], v[180:181]
	v_fma_f64 v[98:99], v[70:71], s[28:29], v[102:103]
	v_mul_f64 v[110:111], v[112:113], s[6:7]
	v_fma_f64 v[102:103], v[70:71], s[50:51], v[102:103]
	v_mul_f64 v[146:147], v[112:113], s[26:27]
	v_mul_f64 v[112:113], v[112:113], s[16:17]
	v_fma_f64 v[168:169], v[74:75], s[52:53], v[170:171]
	v_add_f64 v[122:123], v[142:143], v[122:123]
	v_fma_f64 v[170:171], v[74:75], s[18:19], v[170:171]
	v_fma_f64 v[174:175], v[74:75], s[24:25], v[152:153]
	;; [unrolled: 1-line block ×3, first 2 shown]
	v_add_f64 v[108:109], v[132:133], v[108:109]
	v_fma_f64 v[158:159], v[74:75], s[40:41], v[172:173]
	v_add_f64 v[132:133], v[150:151], v[148:149]
	v_fma_f64 v[142:143], v[70:71], s[44:45], v[156:157]
	v_fma_f64 v[70:71], v[70:71], s[38:39], v[156:157]
	v_add_f64 v[76:77], v[76:77], v[80:81]
	v_fma_f64 v[80:81], v[78:79], s[52:53], v[166:167]
	v_add_f64 v[88:89], v[88:89], v[104:105]
	v_add_f64 v[4:5], v[94:95], v[4:5]
	;; [unrolled: 1-line block ×3, first 2 shown]
	v_mul_f64 v[104:105], v[106:107], s[4:5]
	v_add_f64 v[82:83], v[138:139], v[82:83]
	v_fma_f64 v[138:139], v[72:73], s[22:23], v[154:155]
	v_fma_f64 v[148:149], v[78:79], s[28:29], v[176:177]
	v_mul_f64 v[150:151], v[114:115], s[30:31]
	v_add_f64 v[136:137], v[178:179], v[136:137]
	v_add_f64 v[96:97], v[96:97], v[112:113]
	v_mul_f64 v[112:113], v[114:115], s[12:13]
	v_add_f64 v[94:95], v[98:99], v[122:123]
	v_fma_f64 v[98:99], v[72:73], s[18:19], v[110:111]
	v_fma_f64 v[122:123], v[72:73], s[36:37], v[146:147]
	;; [unrolled: 1-line block ×3, first 2 shown]
	v_add_f64 v[102:103], v[102:103], v[108:109]
	v_fma_f64 v[108:109], v[72:73], s[52:53], v[110:111]
	v_fma_f64 v[72:73], v[72:73], s[40:41], v[146:147]
	v_add_f64 v[110:111], v[142:143], v[132:133]
	v_mul_f64 v[132:133], v[106:107], s[16:17]
	v_add_f64 v[70:71], v[70:71], v[76:77]
	v_mul_f64 v[106:107], v[106:107], s[20:21]
	v_mul_f64 v[142:143], v[114:115], s[4:5]
	v_add_f64 v[4:5], v[88:89], v[4:5]
	v_add_f64 v[88:89], v[20:21], v[92:93]
	v_mul_f64 v[76:77], v[114:115], s[20:21]
	v_add_f64 v[80:81], v[80:81], v[120:121]
	v_add_f64 v[82:83], v[138:139], v[82:83]
	v_fma_f64 v[92:93], v[74:75], s[36:37], v[172:173]
	v_mul_f64 v[120:121], v[114:115], s[10:11]
	v_mul_f64 v[114:115], v[114:115], s[26:27]
	v_add_f64 v[134:135], v[152:153], v[134:135]
	v_fma_f64 v[152:153], v[78:79], s[18:19], v[166:167]
	v_add_f64 v[116:117], v[148:149], v[116:117]
	v_add_f64 v[94:95], v[98:99], v[94:95]
	v_fma_f64 v[98:99], v[74:75], s[42:43], v[104:105]
	v_fma_f64 v[104:105], v[74:75], s[14:15], v[104:105]
	;; [unrolled: 1-line block ×3, first 2 shown]
	v_add_f64 v[102:103], v[108:109], v[102:103]
	v_fma_f64 v[150:151], v[78:79], s[38:39], v[150:151]
	v_add_f64 v[108:109], v[122:123], v[110:111]
	v_fma_f64 v[110:111], v[74:75], s[28:29], v[132:133]
	v_fma_f64 v[74:75], v[74:75], s[50:51], v[132:133]
	v_add_f64 v[70:71], v[72:73], v[70:71]
	v_add_f64 v[90:91], v[90:91], v[106:107]
	;; [unrolled: 1-line block ×4, first 2 shown]
	v_fma_f64 v[122:123], v[78:79], s[42:43], v[142:143]
	v_fma_f64 v[138:139], v[78:79], s[14:15], v[142:143]
	;; [unrolled: 1-line block ×3, first 2 shown]
	v_add_f64 v[82:83], v[92:93], v[82:83]
	v_fma_f64 v[76:77], v[78:79], s[48:49], v[76:77]
	v_fma_f64 v[106:107], v[78:79], s[22:23], v[120:121]
	v_add_f64 v[160:161], v[174:175], v[160:161]
	v_add_f64 v[118:119], v[170:171], v[118:119]
	;; [unrolled: 1-line block ×3, first 2 shown]
	v_mul_f64 v[142:143], v[100:101], s[16:17]
	v_add_f64 v[92:93], v[98:99], v[94:95]
	v_fma_f64 v[94:95], v[78:79], s[54:55], v[112:113]
	v_mul_f64 v[96:97], v[100:101], s[10:11]
	v_add_f64 v[98:99], v[104:105], v[102:103]
	v_fma_f64 v[102:103], v[78:79], s[24:25], v[112:113]
	v_fma_f64 v[78:79], v[78:79], s[46:47], v[120:121]
	v_add_f64 v[104:105], v[110:111], v[108:109]
	v_mul_f64 v[112:113], v[100:101], s[26:27]
	v_mul_f64 v[120:121], v[100:101], s[4:5]
	v_add_f64 v[70:71], v[74:75], v[70:71]
	v_mul_f64 v[110:111], v[100:101], s[20:21]
	v_mul_f64 v[74:75], v[100:101], s[6:7]
	;; [unrolled: 1-line block ×3, first 2 shown]
	v_add_f64 v[130:131], v[168:169], v[130:131]
	v_add_f64 v[84:85], v[84:85], v[114:115]
	v_mul_f64 v[100:101], v[100:101], s[30:31]
	v_add_f64 v[4:5], v[90:91], v[4:5]
	v_add_f64 v[88:89], v[12:13], v[88:89]
	;; [unrolled: 1-line block ×8, first 2 shown]
	v_fma_f64 v[134:135], v[68:69], s[28:29], v[142:143]
	v_fma_f64 v[136:137], v[68:69], s[22:23], v[96:97]
	v_add_f64 v[92:93], v[102:103], v[98:99]
	v_fma_f64 v[96:97], v[68:69], s[46:47], v[96:97]
	v_add_f64 v[94:95], v[106:107], v[104:105]
	v_fma_f64 v[104:105], v[68:69], s[36:37], v[112:113]
	v_fma_f64 v[106:107], v[68:69], s[42:43], v[120:121]
	v_add_f64 v[70:71], v[78:79], v[70:71]
	v_fma_f64 v[102:103], v[68:69], s[34:35], v[110:111]
	;; [unrolled: 3-line block ×3, first 2 shown]
	v_fma_f64 v[114:115], v[68:69], s[54:55], v[132:133]
	v_add_f64 v[144:145], v[152:153], v[144:145]
	v_add_f64 v[130:131], v[148:149], v[130:131]
	v_fma_f64 v[132:133], v[68:69], s[50:51], v[142:143]
	v_fma_f64 v[98:99], v[68:69], s[48:49], v[110:111]
	;; [unrolled: 1-line block ×5, first 2 shown]
	v_add_f64 v[86:87], v[86:87], v[100:101]
	v_add_f64 v[4:5], v[84:85], v[4:5]
	;; [unrolled: 1-line block ×19, first 2 shown]
	v_mad_u32_u24 v84, 0x88, v124, 0
	ds_write2_b64 v84, v[70:71], v[92:93] offset0:2 offset1:3
	ds_write2_b64 v84, v[76:77], v[102:103] offset0:4 offset1:5
	;; [unrolled: 1-line block ×7, first 2 shown]
	ds_write2_b64 v84, v[82:83], v[4:5] offset1:1
	ds_write_b64 v84, v[128:129] offset:128
.LBB0_13:
	s_or_b32 exec_lo, exec_lo, s1
	v_add_f64 v[134:135], v[64:65], -v[0:1]
	v_add_f64 v[64:65], v[2:3], v[66:67]
	v_add_f64 v[108:109], v[60:61], -v[8:9]
	v_add_f64 v[60:61], v[10:11], v[62:63]
	;; [unrolled: 2-line block ×7, first 2 shown]
	v_lshl_add_u32 v136, v124, 3, 0
	s_waitcnt lgkmcnt(0)
	s_barrier
	buffer_gl0_inv
	v_add_nc_u32_e32 v138, 0x1000, v136
	v_add_nc_u32_e32 v125, 0x800, v136
	;; [unrolled: 1-line block ×3, first 2 shown]
	v_mul_f64 v[100:101], v[134:135], s[14:15]
	ds_read2_b64 v[84:87], v136 offset1:51
	v_mul_f64 v[102:103], v[108:109], s[18:19]
	ds_read2_b64 v[88:91], v136 offset0:102 offset1:153
	v_mul_f64 v[104:105], v[110:111], s[22:23]
	ds_read2_b64 v[92:95], v136 offset0:204 offset1:255
	ds_read2_b64 v[80:83], v125 offset0:152 offset1:203
	;; [unrolled: 1-line block ×3, first 2 shown]
	v_mul_f64 v[106:107], v[114:115], s[24:25]
	v_mul_f64 v[28:29], v[112:113], s[28:29]
	;; [unrolled: 1-line block ×3, first 2 shown]
	v_fma_f64 v[0:1], v[64:65], s[4:5], v[100:101]
	v_fma_f64 v[4:5], v[60:61], s[6:7], v[102:103]
	;; [unrolled: 1-line block ×4, first 2 shown]
	v_add_f64 v[0:1], v[6:7], v[0:1]
	v_add_f64 v[0:1], v[4:5], v[0:1]
	v_fma_f64 v[4:5], v[52:53], s[12:13], v[106:107]
	v_add_f64 v[0:1], v[8:9], v[0:1]
	v_add_f64 v[8:9], v[36:37], -v[24:25]
	v_mul_f64 v[24:25], v[40:41], s[36:37]
	v_fma_f64 v[36:37], v[20:21], s[20:21], v[32:33]
	v_add_f64 v[0:1], v[4:5], v[0:1]
	v_mul_f64 v[4:5], v[8:9], s[38:39]
	v_fma_f64 v[68:69], v[16:17], s[26:27], v[24:25]
	v_add_f64 v[12:13], v[12:13], v[0:1]
	v_add_f64 v[0:1], v[26:27], v[38:39]
	v_add_f64 v[12:13], v[36:37], v[12:13]
	v_fma_f64 v[36:37], v[0:1], s[30:31], v[4:5]
	v_add_f64 v[12:13], v[68:69], v[12:13]
	ds_read2_b64 v[72:75], v138 offset0:100 offset1:151
	ds_read2_b64 v[96:99], v125 offset0:50 offset1:101
	;; [unrolled: 1-line block ×3, first 2 shown]
	s_waitcnt lgkmcnt(0)
	s_barrier
	buffer_gl0_inv
	v_add_f64 v[130:131], v[36:37], v[12:13]
	s_and_saveexec_b32 s33, s0
	s_cbranch_execz .LBB0_15
; %bb.14:
	v_add_f64 v[140:141], v[66:67], v[6:7]
	s_mov_b32 s38, 0x2a9d6da3
	s_mov_b32 s39, 0xbfe58eea
	v_mul_f64 v[36:37], v[64:65], s[4:5]
	v_mul_f64 v[66:67], v[60:61], s[6:7]
	;; [unrolled: 1-line block ×3, first 2 shown]
	s_mov_b32 s0, 0x75d4884
	s_mov_b32 s52, 0x7c9e640b
	;; [unrolled: 1-line block ×14, first 2 shown]
	v_mul_f64 v[116:117], v[56:57], s[10:11]
	v_mul_f64 v[118:119], v[52:53], s[12:13]
	v_add_f64 v[62:63], v[62:63], v[140:141]
	v_mul_f64 v[120:121], v[44:45], s[16:17]
	v_mul_f64 v[132:133], v[16:17], s[26:27]
	;; [unrolled: 1-line block ×8, first 2 shown]
	v_add_f64 v[36:37], v[36:37], -v[100:101]
	s_mov_b32 s4, 0x2b2883cd
	s_mov_b32 s6, 0x3259b75e
	;; [unrolled: 1-line block ×12, first 2 shown]
	v_add_f64 v[58:59], v[58:59], v[62:63]
	v_mul_f64 v[62:63], v[134:135], s[38:39]
	v_mul_f64 v[134:135], v[134:135], s[40:41]
	s_mov_b32 s27, 0xbfef7484
	s_mov_b32 s45, 0x3fe0d888
	;; [unrolled: 1-line block ×8, first 2 shown]
	v_mul_f64 v[152:153], v[108:109], s[18:19]
	v_mul_f64 v[154:155], v[108:109], s[40:41]
	;; [unrolled: 1-line block ×5, first 2 shown]
	v_add_f64 v[100:101], v[118:119], -v[106:107]
	v_add_f64 v[28:29], v[120:121], -v[28:29]
	;; [unrolled: 1-line block ×4, first 2 shown]
	v_fma_f64 v[106:107], v[64:65], s[4:5], v[140:141]
	v_fma_f64 v[118:119], v[64:65], s[6:7], v[142:143]
	v_add_f64 v[54:55], v[54:55], v[58:59]
	v_fma_f64 v[120:121], v[64:65], s[10:11], -v[144:145]
	v_fma_f64 v[122:123], v[64:65], s[10:11], v[144:145]
	v_fma_f64 v[132:133], v[64:65], s[12:13], -v[146:147]
	v_fma_f64 v[144:145], v[64:65], s[16:17], v[148:149]
	v_add_f64 v[36:37], v[6:7], v[36:37]
	s_mov_b32 s22, 0x370991
	v_mul_f64 v[12:13], v[0:1], s[30:31]
	s_mov_b32 s23, 0x3fedd6d0
	s_mov_b32 s49, 0x3fc7851a
	;; [unrolled: 1-line block ×7, first 2 shown]
	v_mul_f64 v[160:161], v[110:111], s[20:21]
	v_mul_f64 v[162:163], v[114:115], s[40:41]
	;; [unrolled: 1-line block ×5, first 2 shown]
	v_fma_f64 v[218:219], v[60:61], s[22:23], -v[156:157]
	v_fma_f64 v[156:157], v[60:61], s[22:23], v[156:157]
	v_add_f64 v[46:47], v[46:47], v[54:55]
	v_mul_f64 v[54:55], v[108:109], s[42:43]
	v_mul_f64 v[108:109], v[108:109], s[24:25]
	v_fma_f64 v[220:221], v[56:57], s[12:13], -v[158:159]
	v_fma_f64 v[246:247], v[60:61], s[16:17], -v[188:189]
	v_fma_f64 v[188:189], v[60:61], s[16:17], v[188:189]
	v_add_f64 v[106:107], v[6:7], v[106:107]
	v_add_f64 v[118:119], v[6:7], v[118:119]
	;; [unrolled: 1-line block ×6, first 2 shown]
	v_mul_f64 v[58:59], v[110:111], s[36:37]
	v_mul_f64 v[110:111], v[110:111], s[46:47]
	v_fma_f64 v[158:159], v[56:57], s[12:13], v[158:159]
	s_mov_b32 s51, 0x3fe9895b
	s_mov_b32 s50, s18
	v_mul_f64 v[164:165], v[114:115], s[28:29]
	v_mul_f64 v[166:167], v[114:115], s[52:53]
	;; [unrolled: 1-line block ×5, first 2 shown]
	v_add_f64 v[46:47], v[50:51], v[46:47]
	v_add_f64 v[50:51], v[66:67], -v[102:103]
	v_fma_f64 v[102:103], v[64:65], s[0:1], -v[62:63]
	v_fma_f64 v[62:63], v[64:65], s[0:1], v[62:63]
	v_add_f64 v[66:67], v[116:117], -v[104:105]
	v_fma_f64 v[104:105], v[64:65], s[4:5], -v[140:141]
	v_fma_f64 v[116:117], v[64:65], s[6:7], -v[142:143]
	v_fma_f64 v[140:141], v[64:65], s[12:13], v[146:147]
	v_fma_f64 v[142:143], v[64:65], s[16:17], -v[148:149]
	v_fma_f64 v[146:147], v[64:65], s[26:27], -v[134:135]
	v_fma_f64 v[64:65], v[64:65], s[26:27], v[134:135]
	v_fma_f64 v[134:135], v[60:61], s[6:7], v[150:151]
	v_fma_f64 v[148:149], v[60:61], s[12:13], -v[152:153]
	v_fma_f64 v[248:249], v[60:61], s[10:11], -v[54:55]
	v_fma_f64 v[54:55], v[60:61], s[10:11], v[54:55]
	v_fma_f64 v[250:251], v[60:61], s[4:5], -v[108:109]
	v_mul_f64 v[114:115], v[114:115], s[30:31]
	v_mul_f64 v[200:201], v[112:113], s[44:45]
	v_fma_f64 v[224:225], v[56:57], s[16:17], -v[160:161]
	v_fma_f64 v[160:161], v[56:57], s[16:17], v[160:161]
	v_fma_f64 v[226:227], v[52:53], s[26:27], -v[162:163]
	v_fma_f64 v[252:253], v[56:57], s[0:1], -v[194:195]
	v_add_f64 v[42:43], v[42:43], v[46:47]
	v_fma_f64 v[46:47], v[60:61], s[6:7], -v[150:151]
	v_add_f64 v[102:103], v[6:7], v[102:103]
	v_add_f64 v[62:63], v[6:7], v[62:63]
	v_fma_f64 v[150:151], v[60:61], s[12:13], v[152:153]
	v_fma_f64 v[152:153], v[60:61], s[26:27], -v[154:155]
	v_fma_f64 v[154:155], v[60:61], s[26:27], v[154:155]
	v_add_f64 v[104:105], v[6:7], v[104:105]
	v_add_f64 v[116:117], v[6:7], v[116:117]
	;; [unrolled: 1-line block ×7, first 2 shown]
	v_fma_f64 v[60:61], v[60:61], s[4:5], v[108:109]
	v_fma_f64 v[108:109], v[56:57], s[26:27], v[190:191]
	;; [unrolled: 1-line block ×3, first 2 shown]
	v_fma_f64 v[222:223], v[56:57], s[6:7], -v[58:59]
	v_fma_f64 v[58:59], v[56:57], s[6:7], v[58:59]
	v_fma_f64 v[162:163], v[52:53], s[26:27], v[162:163]
	s_mov_b32 s35, 0x3fefdd0d
	s_mov_b32 s34, s36
	v_add_f64 v[38:39], v[38:39], v[42:43]
	v_mul_f64 v[170:171], v[112:113], s[52:53]
	v_add_f64 v[46:47], v[46:47], v[102:103]
	v_add_f64 v[50:51], v[134:135], v[62:63]
	;; [unrolled: 1-line block ×3, first 2 shown]
	v_mul_f64 v[172:173], v[112:113], s[40:41]
	v_add_f64 v[106:107], v[154:155], v[118:119]
	v_add_f64 v[62:63], v[148:149], v[104:105]
	;; [unrolled: 1-line block ×12, first 2 shown]
	v_mul_f64 v[174:175], v[112:113], s[18:19]
	v_mul_f64 v[202:203], v[112:113], s[30:31]
	;; [unrolled: 1-line block ×4, first 2 shown]
	v_add_f64 v[26:27], v[26:27], v[38:39]
	v_fma_f64 v[38:39], v[56:57], s[26:27], -v[190:191]
	v_fma_f64 v[190:191], v[56:57], s[10:11], -v[192:193]
	v_fma_f64 v[192:193], v[56:57], s[10:11], v[192:193]
	v_add_f64 v[46:47], v[220:221], v[46:47]
	v_add_f64 v[50:51], v[158:159], v[50:51]
	v_mul_f64 v[206:207], v[48:49], s[42:43]
	v_fma_f64 v[228:229], v[52:53], s[22:23], -v[164:165]
	v_fma_f64 v[164:165], v[52:53], s[22:23], v[164:165]
	v_fma_f64 v[230:231], v[52:53], s[4:5], -v[166:167]
	v_fma_f64 v[166:167], v[52:53], s[4:5], v[166:167]
	;; [unrolled: 2-line block ×3, first 2 shown]
	v_fma_f64 v[64:65], v[52:53], s[10:11], -v[196:197]
	v_add_f64 v[6:7], v[160:161], v[6:7]
	v_add_f64 v[36:37], v[100:101], v[36:37]
	v_fma_f64 v[134:135], v[44:45], s[16:17], v[200:201]
	v_add_f64 v[58:59], v[58:59], v[60:61]
	v_add_f64 v[60:61], v[224:225], v[132:133]
	v_mul_f64 v[176:177], v[48:49], s[20:21]
	v_mul_f64 v[178:179], v[48:49], s[38:39]
	;; [unrolled: 1-line block ×3, first 2 shown]
	v_add_f64 v[26:27], v[34:35], v[26:27]
	v_fma_f64 v[34:35], v[56:57], s[22:23], -v[110:111]
	v_fma_f64 v[56:57], v[56:57], s[22:23], v[110:111]
	v_fma_f64 v[110:111], v[52:53], s[10:11], v[196:197]
	v_fma_f64 v[196:197], v[52:53], s[12:13], -v[198:199]
	v_fma_f64 v[198:199], v[52:53], s[12:13], v[198:199]
	v_add_f64 v[38:39], v[38:39], v[62:63]
	v_add_f64 v[62:63], v[108:109], v[102:103]
	;; [unrolled: 1-line block ×8, first 2 shown]
	v_mul_f64 v[208:209], v[48:49], s[46:47]
	v_mul_f64 v[210:211], v[48:49], s[34:35]
	;; [unrolled: 1-line block ×4, first 2 shown]
	v_fma_f64 v[168:169], v[44:45], s[4:5], -v[170:171]
	v_fma_f64 v[170:171], v[44:45], s[4:5], v[170:171]
	v_fma_f64 v[234:235], v[44:45], s[26:27], -v[172:173]
	v_fma_f64 v[172:173], v[44:45], s[26:27], v[172:173]
	v_add_f64 v[26:27], v[30:31], v[26:27]
	v_fma_f64 v[30:31], v[52:53], s[0:1], -v[114:115]
	v_fma_f64 v[52:53], v[52:53], s[0:1], v[114:115]
	v_fma_f64 v[114:115], v[44:45], s[16:17], -v[200:201]
	v_add_f64 v[34:35], v[34:35], v[120:121]
	v_add_f64 v[54:55], v[56:57], v[54:55]
	;; [unrolled: 1-line block ×3, first 2 shown]
	v_fma_f64 v[236:237], v[44:45], s[12:13], -v[174:175]
	v_fma_f64 v[174:175], v[44:45], s[12:13], v[174:175]
	v_fma_f64 v[140:141], v[44:45], s[0:1], -v[202:203]
	v_fma_f64 v[142:143], v[44:45], s[0:1], v[202:203]
	v_fma_f64 v[108:109], v[44:45], s[6:7], v[204:205]
	v_fma_f64 v[116:117], v[44:45], s[22:23], -v[112:113]
	v_add_f64 v[38:39], v[64:65], v[38:39]
	v_add_f64 v[62:63], v[110:111], v[62:63]
	;; [unrolled: 1-line block ×7, first 2 shown]
	v_fma_f64 v[118:119], v[20:21], s[10:11], v[206:207]
	v_mul_f64 v[182:183], v[40:41], s[36:37]
	v_add_f64 v[22:23], v[22:23], v[26:27]
	v_fma_f64 v[26:27], v[44:45], s[6:7], -v[204:205]
	v_fma_f64 v[44:45], v[44:45], s[22:23], v[112:113]
	v_fma_f64 v[112:113], v[20:21], s[10:11], -v[206:207]
	v_add_f64 v[6:7], v[52:53], v[6:7]
	v_add_f64 v[36:37], v[114:115], v[46:47]
	;; [unrolled: 1-line block ×8, first 2 shown]
	v_mul_f64 v[184:185], v[40:41], s[40:41]
	v_mul_f64 v[186:187], v[40:41], s[14:15]
	v_mul_f64 v[214:215], v[40:41], s[50:51]
	v_mul_f64 v[216:217], v[40:41], s[46:47]
	v_mul_f64 v[40:41], v[40:41], s[30:31]
	v_fma_f64 v[238:239], v[20:21], s[16:17], -v[176:177]
	v_fma_f64 v[176:177], v[20:21], s[16:17], v[176:177]
	v_fma_f64 v[240:241], v[20:21], s[0:1], -v[178:179]
	v_fma_f64 v[178:179], v[20:21], s[0:1], v[178:179]
	v_fma_f64 v[242:243], v[20:21], s[26:27], -v[180:181]
	v_add_f64 v[18:19], v[18:19], v[22:23]
	v_fma_f64 v[180:181], v[20:21], s[26:27], v[180:181]
	v_fma_f64 v[22:23], v[20:21], s[22:23], -v[208:209]
	v_fma_f64 v[52:53], v[20:21], s[22:23], v[208:209]
	v_fma_f64 v[58:59], v[20:21], s[6:7], -v[210:211]
	v_fma_f64 v[60:61], v[20:21], s[6:7], v[210:211]
	v_fma_f64 v[104:105], v[20:21], s[4:5], -v[48:49]
	v_fma_f64 v[20:21], v[20:21], s[4:5], v[48:49]
	v_add_f64 v[38:39], v[140:141], v[38:39]
	v_add_f64 v[48:49], v[142:143], v[62:63]
	;; [unrolled: 1-line block ×13, first 2 shown]
	v_fma_f64 v[54:55], v[16:17], s[4:5], v[212:213]
	v_add_f64 v[14:15], v[14:15], v[18:19]
	v_fma_f64 v[18:19], v[16:17], s[4:5], -v[212:213]
	v_add_f64 v[36:37], v[118:119], v[46:47]
	v_add_f64 v[30:31], v[236:237], v[30:31]
	v_fma_f64 v[244:245], v[16:17], s[6:7], -v[182:183]
	v_fma_f64 v[182:183], v[16:17], s[6:7], v[182:183]
	v_fma_f64 v[56:57], v[16:17], s[12:13], -v[214:215]
	v_fma_f64 v[100:101], v[16:17], s[12:13], v[214:215]
	;; [unrolled: 2-line block ×3, first 2 shown]
	v_add_f64 v[22:23], v[22:23], v[38:39]
	v_add_f64 v[38:39], v[52:53], v[48:49]
	;; [unrolled: 1-line block ×6, first 2 shown]
	v_fma_f64 v[20:21], v[16:17], s[26:27], v[184:185]
	v_fma_f64 v[58:59], v[16:17], s[0:1], -v[40:41]
	v_fma_f64 v[40:41], v[16:17], s[0:1], v[40:41]
	v_fma_f64 v[60:61], v[16:17], s[10:11], -v[186:187]
	v_add_f64 v[24:25], v[24:25], v[28:29]
	v_mul_f64 v[28:29], v[8:9], s[28:29]
	v_add_f64 v[10:11], v[10:11], v[14:15]
	v_fma_f64 v[14:15], v[16:17], s[26:27], -v[184:185]
	v_fma_f64 v[16:17], v[16:17], s[10:11], v[186:187]
	v_add_f64 v[18:19], v[18:19], v[32:33]
	v_mul_f64 v[32:33], v[8:9], s[20:21]
	v_add_f64 v[48:49], v[176:177], v[62:63]
	v_add_f64 v[34:35], v[178:179], v[34:35]
	;; [unrolled: 1-line block ×3, first 2 shown]
	v_mul_f64 v[62:63], v[8:9], s[30:31]
	v_add_f64 v[36:37], v[54:55], v[36:37]
	v_mul_f64 v[54:55], v[8:9], s[18:19]
	v_add_f64 v[26:27], v[240:241], v[26:27]
	v_add_f64 v[42:43], v[242:243], v[42:43]
	v_add_f64 v[30:31], v[104:105], v[30:31]
	v_mul_f64 v[64:65], v[8:9], s[24:25]
	v_mul_f64 v[66:67], v[8:9], s[14:15]
	;; [unrolled: 1-line block ×3, first 2 shown]
	v_add_f64 v[4:5], v[12:13], -v[4:5]
	v_add_f64 v[22:23], v[244:245], v[22:23]
	v_add_f64 v[46:47], v[56:57], v[46:47]
	;; [unrolled: 1-line block ×3, first 2 shown]
	v_fma_f64 v[12:13], v[0:1], s[22:23], -v[28:29]
	v_add_f64 v[52:53], v[106:107], v[52:53]
	v_add_f64 v[38:39], v[182:183], v[38:39]
	;; [unrolled: 1-line block ×3, first 2 shown]
	v_fma_f64 v[16:17], v[0:1], s[22:23], v[28:29]
	v_fma_f64 v[28:29], v[0:1], s[16:17], -v[32:33]
	v_add_f64 v[48:49], v[100:101], v[48:49]
	v_add_f64 v[20:21], v[20:21], v[34:35]
	;; [unrolled: 1-line block ×3, first 2 shown]
	v_fma_f64 v[40:41], v[0:1], s[0:1], -v[62:63]
	v_add_f64 v[2:3], v[2:3], v[10:11]
	v_fma_f64 v[44:45], v[0:1], s[12:13], -v[54:55]
	v_add_f64 v[14:15], v[14:15], v[26:27]
	v_add_f64 v[26:27], v[58:59], v[42:43]
	;; [unrolled: 1-line block ×3, first 2 shown]
	v_fma_f64 v[56:57], v[0:1], s[4:5], -v[64:65]
	v_fma_f64 v[60:61], v[0:1], s[10:11], -v[66:67]
	v_fma_f64 v[42:43], v[0:1], s[0:1], v[62:63]
	v_fma_f64 v[62:63], v[0:1], s[6:7], -v[8:9]
	v_fma_f64 v[8:9], v[0:1], s[6:7], v[8:9]
	v_fma_f64 v[58:59], v[0:1], s[4:5], v[64:65]
	;; [unrolled: 1-line block ×5, first 2 shown]
	v_add_f64 v[4:5], v[4:5], v[24:25]
	v_add_f64 v[10:11], v[12:13], v[18:19]
	;; [unrolled: 1-line block ×4, first 2 shown]
	v_lshl_add_u32 v32, v124, 7, v136
	v_add_f64 v[18:19], v[40:41], v[46:47]
	v_add_f64 v[24:25], v[44:45], v[50:51]
	v_add_f64 v[14:15], v[56:57], v[14:15]
	v_add_f64 v[26:27], v[60:61], v[26:27]
	v_add_f64 v[22:23], v[42:43], v[48:49]
	v_add_f64 v[28:29], v[62:63], v[30:31]
	v_add_f64 v[6:7], v[8:9], v[6:7]
	v_add_f64 v[20:21], v[58:59], v[20:21]
	v_add_f64 v[8:9], v[64:65], v[34:35]
	v_add_f64 v[30:31], v[54:55], v[52:53]
	v_add_f64 v[0:1], v[0:1], v[38:39]
	ds_write2_b64 v32, v[2:3], v[4:5] offset1:1
	ds_write2_b64 v32, v[10:11], v[16:17] offset0:2 offset1:3
	ds_write2_b64 v32, v[18:19], v[24:25] offset0:4 offset1:5
	;; [unrolled: 1-line block ×7, first 2 shown]
	ds_write_b64 v32, v[130:131] offset:128
.LBB0_15:
	s_or_b32 exec_lo, exec_lo, s33
	v_and_b32_e32 v0, 0xff, v124
	v_add_nc_u16 v142, v124, 51
	v_add_nc_u16 v143, v124, 0x66
	;; [unrolled: 1-line block ×3, first 2 shown]
	v_add_nc_u32_e32 v137, 0xcc, v124
	v_mul_lo_u16 v0, 0xf1, v0
	v_and_b32_e32 v1, 0xff, v142
	v_and_b32_e32 v2, 0xff, v143
	v_add_nc_u32_e32 v134, 0xff, v124
	v_and_b32_e32 v141, 0xff, v137
	v_lshrrev_b16 v28, 12, v0
	v_mul_lo_u16 v147, 0xf1, v1
	v_mov_b32_e32 v9, 0xf0f1
	v_add_nc_u32_e32 v140, 0x132, v124
	v_add_nc_u32_e32 v135, 0x165, v124
	v_mul_lo_u16 v0, v28, 17
	v_mul_lo_u16 v145, 0xf1, v2
	v_lshrrev_b16 v29, 12, v147
	v_mul_lo_u16 v146, 0xf1, v141
	v_mul_u32_u24_sdwa v11, v134, v9 dst_sel:DWORD dst_unused:UNUSED_PAD src0_sel:WORD_0 src1_sel:DWORD
	v_sub_nc_u16 v31, v124, v0
	v_and_b32_e32 v0, 0xff, v144
	v_mul_u32_u24_sdwa v12, v140, v9 dst_sel:DWORD dst_unused:UNUSED_PAD src0_sel:WORD_0 src1_sel:DWORD
	v_lshrrev_b16 v30, 12, v145
	v_mul_lo_u16 v1, v29, 17
	v_mul_u32_u24_sdwa v9, v135, v9 dst_sel:DWORD dst_unused:UNUSED_PAD src0_sel:WORD_0 src1_sel:DWORD
	v_mul_lo_u16 v148, 0xf1, v0
	v_lshrrev_b16 v33, 12, v146
	v_lshrrev_b32_e32 v34, 20, v11
	v_mov_b32_e32 v8, 4
	v_lshrrev_b32_e32 v35, 20, v12
	v_lshrrev_b16 v32, 12, v148
	v_mul_lo_u16 v2, v30, 17
	v_sub_nc_u16 v150, v142, v1
	v_lshrrev_b32_e32 v36, 20, v9
	v_mul_lo_u16 v11, v33, 17
	v_mul_lo_u16 v9, v32, 17
	;; [unrolled: 1-line block ×3, first 2 shown]
	v_lshlrev_b32_sdwa v1, v8, v31 dst_sel:DWORD dst_unused:UNUSED_PAD src0_sel:DWORD src1_sel:BYTE_0
	v_mul_lo_u16 v13, v35, 17
	v_sub_nc_u16 v151, v143, v2
	v_lshlrev_b32_sdwa v4, v8, v150 dst_sel:DWORD dst_unused:UNUSED_PAD src0_sel:DWORD src1_sel:BYTE_0
	v_mul_lo_u16 v14, v36, 17
	v_sub_nc_u16 v152, v144, v9
	v_sub_nc_u16 v153, v137, v11
	;; [unrolled: 1-line block ×3, first 2 shown]
	s_waitcnt lgkmcnt(0)
	s_barrier
	buffer_gl0_inv
	s_clause 0x1
	global_load_dwordx4 v[0:3], v1, s[8:9]
	global_load_dwordx4 v[4:7], v4, s[8:9]
	v_sub_nc_u16 v38, v140, v13
	v_lshlrev_b32_sdwa v10, v8, v151 dst_sel:DWORD dst_unused:UNUSED_PAD src0_sel:DWORD src1_sel:BYTE_0
	v_sub_nc_u16 v39, v135, v14
	v_lshlrev_b32_sdwa v12, v8, v152 dst_sel:DWORD dst_unused:UNUSED_PAD src0_sel:DWORD src1_sel:BYTE_0
	v_lshlrev_b32_sdwa v13, v8, v153 dst_sel:DWORD dst_unused:UNUSED_PAD src0_sel:DWORD src1_sel:BYTE_0
	v_lshlrev_b32_sdwa v14, v8, v37 dst_sel:DWORD dst_unused:UNUSED_PAD src0_sel:DWORD src1_sel:WORD_0
	v_lshlrev_b32_sdwa v15, v8, v38 dst_sel:DWORD dst_unused:UNUSED_PAD src0_sel:DWORD src1_sel:WORD_0
	;; [unrolled: 1-line block ×3, first 2 shown]
	s_clause 0x5
	global_load_dwordx4 v[8:11], v10, s[8:9]
	global_load_dwordx4 v[40:43], v12, s[8:9]
	;; [unrolled: 1-line block ×6, first 2 shown]
	ds_read2_b64 v[104:107], v125 offset0:152 offset1:203
	ds_read2_b64 v[100:103], v139 offset0:126 offset1:177
	;; [unrolled: 1-line block ×4, first 2 shown]
	v_mov_b32_e32 v149, 0x110
	v_mov_b32_e32 v154, 3
	v_mul_u32_u24_e32 v155, 0x110, v34
	v_mul_u32_u24_e32 v156, 0x110, v35
	;; [unrolled: 1-line block ×3, first 2 shown]
	v_mul_u32_u24_sdwa v158, v29, v149 dst_sel:DWORD dst_unused:UNUSED_PAD src0_sel:WORD_0 src1_sel:DWORD
	v_mul_u32_u24_sdwa v159, v30, v149 dst_sel:DWORD dst_unused:UNUSED_PAD src0_sel:WORD_0 src1_sel:DWORD
	v_mul_u32_u24_sdwa v160, v32, v149 dst_sel:DWORD dst_unused:UNUSED_PAD src0_sel:WORD_0 src1_sel:DWORD
	v_mul_u32_u24_sdwa v161, v33, v149 dst_sel:DWORD dst_unused:UNUSED_PAD src0_sel:WORD_0 src1_sel:DWORD
	v_lshlrev_b32_sdwa v162, v154, v37 dst_sel:DWORD dst_unused:UNUSED_PAD src0_sel:DWORD src1_sel:WORD_0
	v_lshlrev_b32_sdwa v163, v154, v38 dst_sel:DWORD dst_unused:UNUSED_PAD src0_sel:DWORD src1_sel:WORD_0
	;; [unrolled: 1-line block ×3, first 2 shown]
	v_add_nc_u32_e32 v139, 0x400, v136
	ds_read2_b64 v[120:123], v136 offset1:51
	ds_read2_b64 v[116:119], v136 offset0:102 offset1:153
	ds_read2_b64 v[112:115], v136 offset0:204 offset1:255
	;; [unrolled: 1-line block ×3, first 2 shown]
	s_waitcnt vmcnt(0) lgkmcnt(0)
	s_barrier
	buffer_gl0_inv
	v_cmp_gt_u32_e64 s0, 17, v124
	v_mul_f64 v[12:13], v[104:105], v[2:3]
	v_mul_f64 v[14:15], v[106:107], v[6:7]
	;; [unrolled: 1-line block ×8, first 2 shown]
	v_fma_f64 v[12:13], v[80:81], v[0:1], v[12:13]
	v_fma_f64 v[14:15], v[82:83], v[4:5], v[14:15]
	;; [unrolled: 1-line block ×8, first 2 shown]
	v_add_f64 v[12:13], v[84:85], -v[12:13]
	v_add_f64 v[14:15], v[86:87], -v[14:15]
	v_add_f64 v[16:17], v[88:89], -v[16:17]
	v_add_f64 v[18:19], v[90:91], -v[18:19]
	v_add_f64 v[20:21], v[92:93], -v[20:21]
	v_add_f64 v[22:23], v[94:95], -v[22:23]
	v_add_f64 v[24:25], v[96:97], -v[24:25]
	v_add_f64 v[132:133], v[98:99], -v[26:27]
	v_mul_u32_u24_sdwa v26, v28, v149 dst_sel:DWORD dst_unused:UNUSED_PAD src0_sel:WORD_0 src1_sel:DWORD
	v_lshlrev_b32_sdwa v27, v154, v31 dst_sel:DWORD dst_unused:UNUSED_PAD src0_sel:DWORD src1_sel:BYTE_0
	v_add3_u32 v149, 0, v26, v27
	v_fma_f64 v[26:27], v[84:85], 2.0, -v[12:13]
	v_fma_f64 v[28:29], v[86:87], 2.0, -v[14:15]
	v_lshlrev_b32_sdwa v86, v154, v150 dst_sel:DWORD dst_unused:UNUSED_PAD src0_sel:DWORD src1_sel:BYTE_0
	v_lshlrev_b32_sdwa v87, v154, v151 dst_sel:DWORD dst_unused:UNUSED_PAD src0_sel:DWORD src1_sel:BYTE_0
	v_fma_f64 v[30:31], v[88:89], 2.0, -v[16:17]
	v_fma_f64 v[32:33], v[90:91], 2.0, -v[18:19]
	;; [unrolled: 1-line block ×6, first 2 shown]
	v_lshlrev_b32_sdwa v93, v154, v152 dst_sel:DWORD dst_unused:UNUSED_PAD src0_sel:DWORD src1_sel:BYTE_0
	v_lshlrev_b32_sdwa v94, v154, v153 dst_sel:DWORD dst_unused:UNUSED_PAD src0_sel:DWORD src1_sel:BYTE_0
	v_add3_u32 v91, 0, v158, v86
	v_add3_u32 v92, 0, v159, v87
	;; [unrolled: 1-line block ×7, first 2 shown]
	ds_write2_b64 v149, v[26:27], v[12:13] offset1:17
	ds_write2_b64 v91, v[28:29], v[14:15] offset1:17
	;; [unrolled: 1-line block ×8, first 2 shown]
	s_waitcnt lgkmcnt(0)
	s_barrier
	buffer_gl0_inv
	ds_read2_b64 v[16:19], v136 offset1:51
	ds_read2_b64 v[12:15], v139 offset0:76 offset1:144
	ds_read2_b64 v[36:39], v138 offset0:32 offset1:83
	;; [unrolled: 1-line block ×6, first 2 shown]
	ds_read_b64 v[86:87], v136 offset:5984
                                        ; implicit-def: $vgpr84_vgpr85
	s_and_saveexec_b32 s1, s0
	s_cbranch_execz .LBB0_17
; %bb.16:
	ds_read_b64 v[132:133], v136 offset:2040
	ds_read_b64 v[128:129], v136 offset:4216
	;; [unrolled: 1-line block ×3, first 2 shown]
.LBB0_17:
	s_or_b32 exec_lo, exec_lo, s1
	v_mul_f64 v[2:3], v[80:81], v[2:3]
	v_mul_f64 v[6:7], v[82:83], v[6:7]
	;; [unrolled: 1-line block ×8, first 2 shown]
	s_waitcnt lgkmcnt(0)
	s_barrier
	buffer_gl0_inv
	v_fma_f64 v[0:1], v[104:105], v[0:1], -v[2:3]
	v_fma_f64 v[2:3], v[106:107], v[4:5], -v[6:7]
	;; [unrolled: 1-line block ×8, first 2 shown]
	v_add_nc_u32_e32 v60, 0x1000, v136
	v_add_nc_u32_e32 v61, 0x800, v136
	v_add_f64 v[0:1], v[120:121], -v[0:1]
	v_add_f64 v[2:3], v[122:123], -v[2:3]
	;; [unrolled: 1-line block ×8, first 2 shown]
	v_fma_f64 v[42:43], v[120:121], 2.0, -v[0:1]
	v_fma_f64 v[44:45], v[122:123], 2.0, -v[2:3]
	;; [unrolled: 1-line block ×8, first 2 shown]
	ds_write2_b64 v149, v[42:43], v[0:1] offset1:17
	ds_write2_b64 v91, v[44:45], v[2:3] offset1:17
	;; [unrolled: 1-line block ×8, first 2 shown]
	s_waitcnt lgkmcnt(0)
	s_barrier
	buffer_gl0_inv
	ds_read2_b64 v[8:11], v136 offset1:51
	ds_read2_b64 v[0:3], v139 offset0:76 offset1:144
	ds_read2_b64 v[48:51], v60 offset0:32 offset1:83
	;; [unrolled: 1-line block ×6, first 2 shown]
	ds_read_b64 v[60:61], v136 offset:5984
                                        ; implicit-def: $vgpr58_vgpr59
	s_and_saveexec_b32 s1, s0
	s_cbranch_execz .LBB0_19
; %bb.18:
	ds_read_b64 v[56:57], v136 offset:2040
	ds_read_b64 v[130:131], v136 offset:4216
	;; [unrolled: 1-line block ×3, first 2 shown]
.LBB0_19:
	s_or_b32 exec_lo, exec_lo, s1
	v_subrev_nc_u32_e32 v62, 34, v124
	v_cmp_gt_u32_e64 s1, 34, v124
	v_mov_b32_e32 v63, 0
	v_lshrrev_b16 v152, 13, v147
	v_lshrrev_b16 v153, 13, v145
	;; [unrolled: 1-line block ×3, first 2 shown]
	v_cndmask_b32_e64 v125, v62, v124, s1
	v_lshrrev_b16 v155, 13, v146
	v_mul_lo_u16 v65, v152, 34
	v_mul_lo_u16 v66, v153, 34
	;; [unrolled: 1-line block ×3, first 2 shown]
	v_lshlrev_b32_e32 v62, 1, v125
	v_mul_lo_u16 v68, v155, 34
	v_mov_b32_e32 v64, 5
	v_sub_nc_u16 v156, v142, v65
	v_sub_nc_u16 v157, v143, v66
	v_lshlrev_b64 v[62:63], 4, v[62:63]
	v_sub_nc_u16 v158, v144, v67
	v_sub_nc_u16 v159, v137, v68
	v_lshlrev_b32_sdwa v65, v64, v156 dst_sel:DWORD dst_unused:UNUSED_PAD src0_sel:DWORD src1_sel:BYTE_0
	v_lshlrev_b32_sdwa v82, v64, v157 dst_sel:DWORD dst_unused:UNUSED_PAD src0_sel:DWORD src1_sel:BYTE_0
	s_mov_b32 s4, 0xe8584caa
	v_add_co_u32 v62, s1, s8, v62
	v_add_co_ci_u32_e64 v63, s1, s9, v63, s1
	s_mov_b32 s5, 0xbfebb67a
	s_mov_b32 s7, 0x3febb67a
	s_clause 0x1
	global_load_dwordx4 v[70:73], v[62:63], off offset:288
	global_load_dwordx4 v[74:77], v[62:63], off offset:272
	v_lshlrev_b32_sdwa v62, v64, v158 dst_sel:DWORD dst_unused:UNUSED_PAD src0_sel:DWORD src1_sel:BYTE_0
	v_lshlrev_b32_sdwa v63, v64, v159 dst_sel:DWORD dst_unused:UNUSED_PAD src0_sel:DWORD src1_sel:BYTE_0
	s_clause 0x7
	global_load_dwordx4 v[78:81], v65, s[8:9] offset:288
	global_load_dwordx4 v[66:69], v65, s[8:9] offset:272
	global_load_dwordx4 v[88:91], v82, s[8:9] offset:272
	global_load_dwordx4 v[92:95], v82, s[8:9] offset:288
	global_load_dwordx4 v[96:99], v62, s[8:9] offset:272
	global_load_dwordx4 v[100:103], v62, s[8:9] offset:288
	global_load_dwordx4 v[104:107], v63, s[8:9] offset:272
	global_load_dwordx4 v[108:111], v63, s[8:9] offset:288
	v_mov_b32_e32 v62, 0xf0f1
	s_mov_b32 s6, s4
	v_cmp_lt_u32_e64 s1, 33, v124
	v_mul_u32_u24_sdwa v62, v134, v62 dst_sel:DWORD dst_unused:UNUSED_PAD src0_sel:WORD_0 src1_sel:DWORD
	v_lshrrev_b32_e32 v62, 21, v62
	v_mul_lo_u16 v62, v62, 34
	v_sub_nc_u16 v62, v134, v62
	v_and_b32_e32 v160, 0xffff, v62
	v_lshlrev_b32_e32 v62, 5, v160
	s_clause 0x1
	global_load_dwordx4 v[112:115], v62, s[8:9] offset:272
	global_load_dwordx4 v[116:119], v62, s[8:9] offset:288
	s_waitcnt vmcnt(0) lgkmcnt(0)
	s_barrier
	buffer_gl0_inv
	v_mul_f64 v[122:123], v[54:55], v[90:91]
	v_mul_f64 v[62:63], v[2:3], v[76:77]
	;; [unrolled: 1-line block ×20, first 2 shown]
	v_fma_f64 v[34:35], v[34:35], v[88:89], v[122:123]
	v_fma_f64 v[62:63], v[14:15], v[74:75], v[62:63]
	;; [unrolled: 1-line block ×10, first 2 shown]
	v_fma_f64 v[66:67], v[52:53], v[66:67], -v[68:69]
	v_fma_f64 v[26:27], v[50:51], v[78:79], -v[80:81]
	;; [unrolled: 1-line block ×4, first 2 shown]
	v_mov_b32_e32 v121, 0x330
	v_mov_b32_e32 v122, 3
	v_cndmask_b32_e64 v120, 0, 0x330, s1
	v_fma_f64 v[72:73], v[2:3], v[74:75], -v[76:77]
	v_fma_f64 v[48:49], v[48:49], v[70:71], -v[150:151]
	;; [unrolled: 1-line block ×6, first 2 shown]
	v_add_f64 v[50:51], v[62:63], v[36:37]
	v_mul_f64 v[74:75], v[130:131], v[114:115]
	v_add_f64 v[52:53], v[32:33], v[38:39]
	v_add_f64 v[46:47], v[34:35], v[64:65]
	v_mul_f64 v[76:77], v[128:129], v[114:115]
	v_add_f64 v[54:55], v[28:29], v[30:31]
	v_mul_f64 v[78:79], v[58:59], v[118:119]
	v_add_f64 v[60:61], v[14:15], v[24:25]
	v_add_f64 v[80:81], v[18:19], v[32:33]
	;; [unrolled: 1-line block ×6, first 2 shown]
	v_add_f64 v[94:95], v[66:67], -v[26:27]
	v_add_f64 v[96:97], v[68:69], -v[44:45]
	v_mul_u32_u24_sdwa v100, v152, v121 dst_sel:DWORD dst_unused:UNUSED_PAD src0_sel:WORD_0 src1_sel:DWORD
	v_mul_u32_u24_sdwa v101, v153, v121 dst_sel:DWORD dst_unused:UNUSED_PAD src0_sel:WORD_0 src1_sel:DWORD
	v_add_f64 v[92:93], v[72:73], -v[48:49]
	v_mul_u32_u24_sdwa v102, v154, v121 dst_sel:DWORD dst_unused:UNUSED_PAD src0_sel:WORD_0 src1_sel:DWORD
	v_add_f64 v[98:99], v[2:3], -v[40:41]
	v_mul_u32_u24_sdwa v103, v155, v121 dst_sel:DWORD dst_unused:UNUSED_PAD src0_sel:WORD_0 src1_sel:DWORD
	v_lshlrev_b32_e32 v104, 3, v125
	v_fma_f64 v[16:17], v[50:51], -0.5, v[16:17]
	v_fma_f64 v[50:51], v[128:129], v[112:113], v[74:75]
	v_fma_f64 v[18:19], v[52:53], -0.5, v[18:19]
	v_fma_f64 v[20:21], v[46:47], -0.5, v[20:21]
	v_fma_f64 v[46:47], v[130:131], v[112:113], -v[76:77]
	v_fma_f64 v[22:23], v[54:55], -0.5, v[22:23]
	v_add_f64 v[54:55], v[70:71], -v[42:43]
	v_fma_f64 v[12:13], v[60:61], -0.5, v[12:13]
	v_mul_f64 v[60:61], v[84:85], v[118:119]
	v_fma_f64 v[52:53], v[84:85], v[116:117], v[78:79]
	v_add_f64 v[77:78], v[80:81], v[38:39]
	v_add_f64 v[79:80], v[82:83], v[64:65]
	;; [unrolled: 1-line block ×5, first 2 shown]
	v_lshlrev_b32_sdwa v105, v122, v156 dst_sel:DWORD dst_unused:UNUSED_PAD src0_sel:DWORD src1_sel:BYTE_0
	v_lshlrev_b32_sdwa v106, v122, v157 dst_sel:DWORD dst_unused:UNUSED_PAD src0_sel:DWORD src1_sel:BYTE_0
	v_add3_u32 v76, 0, v120, v104
	v_add3_u32 v75, 0, v100, v105
	;; [unrolled: 1-line block ×3, first 2 shown]
	v_fma_f64 v[87:88], v[92:93], s[4:5], v[16:17]
	v_fma_f64 v[16:17], v[92:93], s[6:7], v[16:17]
	;; [unrolled: 1-line block ×9, first 2 shown]
	v_fma_f64 v[54:55], v[58:59], v[116:117], -v[60:61]
	v_fma_f64 v[22:23], v[98:99], s[6:7], v[22:23]
	v_lshlrev_b32_sdwa v58, v122, v158 dst_sel:DWORD dst_unused:UNUSED_PAD src0_sel:DWORD src1_sel:BYTE_0
	v_lshlrev_b32_sdwa v59, v122, v159 dst_sel:DWORD dst_unused:UNUSED_PAD src0_sel:DWORD src1_sel:BYTE_0
	v_add3_u32 v61, 0, v102, v58
	v_add3_u32 v60, 0, v103, v59
	v_lshl_add_u32 v59, v160, 3, 0
	ds_write2_b64 v76, v[85:86], v[87:88] offset1:34
	ds_write_b64 v76, v[16:17] offset:544
	ds_write2_b64 v75, v[77:78], v[89:90] offset1:34
	ds_write_b64 v75, v[18:19] offset:544
	;; [unrolled: 2-line block ×5, first 2 shown]
	s_and_saveexec_b32 s1, s0
	s_cbranch_execz .LBB0_21
; %bb.20:
	v_add_f64 v[12:13], v[50:51], v[52:53]
	v_add_f64 v[16:17], v[46:47], -v[54:55]
	v_add_f64 v[18:19], v[132:133], v[50:51]
	v_fma_f64 v[12:13], v[12:13], -0.5, v[132:133]
	v_add_f64 v[18:19], v[18:19], v[52:53]
	v_fma_f64 v[20:21], v[16:17], s[4:5], v[12:13]
	v_fma_f64 v[12:13], v[16:17], s[6:7], v[12:13]
	v_add_nc_u32_e32 v16, 0x1000, v59
	ds_write2_b64 v16, v[18:19], v[20:21] offset0:202 offset1:236
	ds_write_b64 v59, v[12:13] offset:6256
.LBB0_21:
	s_or_b32 exec_lo, exec_lo, s1
	v_add_f64 v[12:13], v[72:73], v[48:49]
	v_add_f64 v[16:17], v[66:67], v[26:27]
	;; [unrolled: 1-line block ×6, first 2 shown]
	v_add_f64 v[36:37], v[62:63], -v[36:37]
	v_add_f64 v[34:35], v[34:35], -v[64:65]
	v_add_f64 v[64:65], v[6:7], v[2:3]
	v_add_f64 v[62:63], v[10:11], v[66:67]
	v_add_f64 v[32:33], v[32:33], -v[38:39]
	v_add_f64 v[66:67], v[4:5], v[68:69]
	v_add_f64 v[28:29], v[28:29], -v[30:31]
	;; [unrolled: 2-line block ×3, first 2 shown]
	v_add_nc_u32_e32 v38, 0x800, v136
	v_add_nc_u32_e32 v58, 0x1000, v136
	;; [unrolled: 1-line block ×3, first 2 shown]
	s_waitcnt lgkmcnt(0)
	s_barrier
	buffer_gl0_inv
	v_fma_f64 v[12:13], v[12:13], -0.5, v[8:9]
	v_fma_f64 v[24:25], v[16:17], -0.5, v[10:11]
	;; [unrolled: 1-line block ×5, first 2 shown]
	v_add_f64 v[48:49], v[72:73], v[48:49]
	ds_read2_b64 v[0:3], v136 offset1:51
	ds_read2_b64 v[4:7], v136 offset0:102 offset1:153
	ds_read2_b64 v[8:11], v136 offset0:204 offset1:255
	v_add_f64 v[40:41], v[64:65], v[40:41]
	ds_read2_b64 v[16:19], v38 offset0:152 offset1:203
	ds_read2_b64 v[20:23], v39 offset0:126 offset1:177
	v_add_f64 v[62:63], v[62:63], v[26:27]
	v_add_f64 v[44:45], v[66:67], v[44:45]
	;; [unrolled: 1-line block ×3, first 2 shown]
	v_fma_f64 v[64:65], v[36:37], s[6:7], v[12:13]
	v_fma_f64 v[36:37], v[36:37], s[4:5], v[12:13]
	;; [unrolled: 1-line block ×10, first 2 shown]
	ds_read2_b64 v[24:27], v58 offset0:100 offset1:151
	ds_read2_b64 v[12:15], v38 offset0:50 offset1:101
	;; [unrolled: 1-line block ×3, first 2 shown]
	s_waitcnt lgkmcnt(0)
	s_barrier
	buffer_gl0_inv
	ds_write2_b64 v76, v[48:49], v[64:65] offset1:34
	ds_write_b64 v76, v[36:37] offset:544
	ds_write2_b64 v75, v[62:63], v[66:67] offset1:34
	ds_write_b64 v75, v[32:33] offset:544
	;; [unrolled: 2-line block ×5, first 2 shown]
	s_and_saveexec_b32 s1, s0
	s_cbranch_execz .LBB0_23
; %bb.22:
	v_add_f64 v[32:33], v[46:47], v[54:55]
	v_add_f64 v[34:35], v[50:51], -v[52:53]
	v_add_f64 v[36:37], v[56:57], v[46:47]
	s_mov_b32 s5, 0x3febb67a
	s_mov_b32 s4, 0xe8584caa
	v_fma_f64 v[32:33], v[32:33], -0.5, v[56:57]
	v_add_f64 v[36:37], v[36:37], v[54:55]
	v_fma_f64 v[40:41], v[34:35], s[4:5], v[32:33]
	s_mov_b32 s5, 0xbfebb67a
	v_fma_f64 v[32:33], v[34:35], s[4:5], v[32:33]
	v_add_nc_u32_e32 v34, 0x1000, v59
	ds_write2_b64 v34, v[36:37], v[40:41] offset0:202 offset1:236
	ds_write_b64 v59, v[32:33] offset:6256
.LBB0_23:
	s_or_b32 exec_lo, exec_lo, s1
	v_mov_b32_e32 v32, 0xa0a1
	v_mul_lo_u16 v33, 0xa1, v141
	v_mov_b32_e32 v125, 0
	s_waitcnt lgkmcnt(0)
	s_barrier
	v_mul_u32_u24_sdwa v34, v134, v32 dst_sel:DWORD dst_unused:UNUSED_PAD src0_sel:WORD_0 src1_sel:DWORD
	v_mul_u32_u24_sdwa v35, v140, v32 dst_sel:DWORD dst_unused:UNUSED_PAD src0_sel:WORD_0 src1_sel:DWORD
	;; [unrolled: 1-line block ×3, first 2 shown]
	v_lshrrev_b16 v36, 14, v33
	buffer_gl0_inv
	v_lshrrev_b32_e32 v34, 22, v34
	v_lshrrev_b32_e32 v35, 22, v35
	;; [unrolled: 1-line block ×3, first 2 shown]
	v_lshlrev_b64 v[32:33], 4, v[124:125]
	v_mul_lo_u16 v36, 0x66, v36
	v_mul_lo_u16 v40, 0x66, v34
	;; [unrolled: 1-line block ×4, first 2 shown]
	v_add_co_u32 v34, s0, s8, v32
	v_sub_nc_u16 v42, v137, v36
	v_add_co_ci_u32_e64 v35, s0, s9, v33, s0
	v_sub_nc_u16 v40, v134, v40
	v_sub_nc_u16 v41, v140, v41
	v_sub_nc_u16 v43, v135, v37
	v_add_co_u32 v36, s0, 0x330, v34
	v_and_b32_e32 v113, 0xff, v42
	v_add_co_ci_u32_e64 v37, s0, 0, v35, s0
	v_and_b32_e32 v114, 0xffff, v40
	v_and_b32_e32 v115, 0xffff, v41
	;; [unrolled: 1-line block ×3, first 2 shown]
	s_clause 0x1
	global_load_dwordx4 v[40:43], v[34:35], off offset:1360
	global_load_dwordx4 v[44:47], v[36:37], off offset:1360
	v_lshlrev_b32_e32 v48, 4, v113
	v_lshlrev_b32_e32 v52, 4, v114
	v_lshlrev_b32_e32 v56, 4, v115
	v_lshlrev_b32_e32 v57, 4, v116
	s_clause 0x3
	global_load_dwordx4 v[48:51], v48, s[8:9] offset:1360
	global_load_dwordx4 v[52:55], v52, s[8:9] offset:1360
	;; [unrolled: 1-line block ×4, first 2 shown]
	ds_read2_b64 v[67:70], v38 offset0:152 offset1:203
	ds_read2_b64 v[71:74], v39 offset0:126 offset1:177
	;; [unrolled: 1-line block ×4, first 2 shown]
	ds_read2_b64 v[83:86], v136 offset1:51
	ds_read2_b64 v[87:90], v136 offset0:102 offset1:153
	ds_read2_b64 v[91:94], v136 offset0:204 offset1:255
	s_waitcnt vmcnt(5) lgkmcnt(6)
	v_mul_f64 v[56:57], v[67:68], v[42:43]
	s_waitcnt lgkmcnt(5)
	v_mul_f64 v[95:96], v[71:72], v[42:43]
	s_waitcnt vmcnt(4)
	v_mul_f64 v[97:98], v[69:70], v[46:47]
	v_mul_f64 v[109:110], v[16:17], v[42:43]
	;; [unrolled: 1-line block ×5, first 2 shown]
	s_waitcnt vmcnt(3) lgkmcnt(4)
	v_mul_f64 v[101:102], v[75:76], v[50:51]
	v_mul_f64 v[46:47], v[22:23], v[46:47]
	s_waitcnt vmcnt(2)
	v_mul_f64 v[103:104], v[77:78], v[54:55]
	s_waitcnt vmcnt(1) lgkmcnt(3)
	v_mul_f64 v[105:106], v[79:80], v[61:62]
	v_mul_f64 v[50:51], v[24:25], v[50:51]
	s_waitcnt vmcnt(0)
	v_mul_f64 v[107:108], v[81:82], v[65:66]
	v_mul_f64 v[54:55], v[26:27], v[54:55]
	;; [unrolled: 1-line block ×4, first 2 shown]
	v_fma_f64 v[56:57], v[16:17], v[40:41], v[56:57]
	v_fma_f64 v[20:21], v[20:21], v[40:41], v[95:96]
	;; [unrolled: 1-line block ×3, first 2 shown]
	v_fma_f64 v[67:68], v[67:68], v[40:41], -v[109:110]
	v_fma_f64 v[40:41], v[71:72], v[40:41], -v[42:43]
	;; [unrolled: 1-line block ×3, first 2 shown]
	v_fma_f64 v[22:23], v[22:23], v[44:45], v[99:100]
	v_fma_f64 v[24:25], v[24:25], v[48:49], v[101:102]
	v_fma_f64 v[44:45], v[73:74], v[44:45], -v[46:47]
	v_fma_f64 v[26:27], v[26:27], v[52:53], v[103:104]
	v_fma_f64 v[28:29], v[28:29], v[59:60], v[105:106]
	v_fma_f64 v[46:47], v[75:76], v[48:49], -v[50:51]
	v_fma_f64 v[30:31], v[30:31], v[63:64], v[107:108]
	v_fma_f64 v[48:49], v[77:78], v[52:53], -v[54:55]
	v_fma_f64 v[50:51], v[79:80], v[59:60], -v[61:62]
	v_fma_f64 v[52:53], v[81:82], v[63:64], -v[65:66]
	ds_read2_b64 v[16:19], v38 offset0:50 offset1:101
	v_lshl_add_u32 v63, v114, 3, 0
	v_lshl_add_u32 v64, v115, 3, 0
	;; [unrolled: 1-line block ×3, first 2 shown]
	s_waitcnt lgkmcnt(0)
	s_barrier
	v_add_f64 v[54:55], v[0:1], -v[56:57]
	v_add_f64 v[20:21], v[4:5], -v[20:21]
	;; [unrolled: 1-line block ×16, first 2 shown]
	v_add_nc_u32_e32 v76, 0x800, v63
	v_add_nc_u32_e32 v77, 0x1000, v64
	;; [unrolled: 1-line block ×3, first 2 shown]
	buffer_gl0_inv
	ds_write2_b64 v136, v[54:55], v[56:57] offset0:102 offset1:153
	ds_write2_b64 v38, v[20:21], v[22:23] offset0:50 offset1:101
	v_fma_f64 v[0:1], v[0:1], 2.0, -v[54:55]
	v_fma_f64 v[2:3], v[2:3], 2.0, -v[56:57]
	;; [unrolled: 1-line block ×16, first 2 shown]
	v_add_co_u32 v97, s0, 0x800, v34
	v_lshl_add_u32 v99, v113, 3, 0
	v_add_co_ci_u32_e64 v98, s0, 0, v35, s0
	v_add_co_u32 v59, s0, 0x1000, v34
	v_add_co_ci_u32_e64 v60, s0, 0, v35, s0
	v_add_nc_u32_e32 v75, 0x800, v99
	ds_write2_b64 v136, v[0:1], v[2:3] offset1:51
	ds_write2_b64 v136, v[4:5], v[6:7] offset0:204 offset1:255
	ds_write2_b64 v75, v[8:9], v[24:25] offset0:152 offset1:254
	ds_write2_b64 v76, v[10:11], v[26:27] offset0:152 offset1:254
	ds_write2_b64 v77, v[12:13], v[28:29] offset0:100 offset1:202
	ds_write2_b64 v78, v[14:15], v[30:31] offset0:100 offset1:202
	s_waitcnt lgkmcnt(0)
	s_barrier
	buffer_gl0_inv
	ds_read2_b64 v[0:3], v136 offset1:51
	ds_read2_b64 v[4:7], v38 offset0:152 offset1:203
	ds_read2_b64 v[8:11], v136 offset0:102 offset1:153
	;; [unrolled: 1-line block ×7, first 2 shown]
	s_waitcnt lgkmcnt(0)
	s_barrier
	buffer_gl0_inv
	ds_write2_b64 v136, v[63:64], v[67:68] offset1:51
	ds_write2_b64 v136, v[61:62], v[42:43] offset0:102 offset1:153
	ds_write2_b64 v136, v[65:66], v[69:70] offset0:204 offset1:255
	;; [unrolled: 1-line block ×7, first 2 shown]
	s_waitcnt lgkmcnt(0)
	s_barrier
	buffer_gl0_inv
	s_clause 0x3
	global_load_dwordx4 v[40:43], v[97:98], off offset:944
	global_load_dwordx4 v[44:47], v[97:98], off offset:1760
	;; [unrolled: 1-line block ×4, first 2 shown]
	ds_read2_b64 v[59:62], v38 offset0:152 offset1:203
	ds_read2_b64 v[63:66], v39 offset0:126 offset1:177
	;; [unrolled: 1-line block ×4, first 2 shown]
	s_waitcnt vmcnt(3) lgkmcnt(3)
	v_mul_f64 v[56:57], v[59:60], v[42:43]
	s_waitcnt vmcnt(2)
	v_mul_f64 v[75:76], v[61:62], v[46:47]
	s_waitcnt vmcnt(1) lgkmcnt(2)
	v_mul_f64 v[77:78], v[63:64], v[50:51]
	s_waitcnt vmcnt(0)
	v_mul_f64 v[79:80], v[65:66], v[54:55]
	s_waitcnt lgkmcnt(1)
	v_mul_f64 v[81:82], v[67:68], v[42:43]
	v_mul_f64 v[83:84], v[69:70], v[46:47]
	s_waitcnt lgkmcnt(0)
	v_mul_f64 v[85:86], v[71:72], v[50:51]
	v_mul_f64 v[87:88], v[73:74], v[54:55]
	;; [unrolled: 1-line block ×10, first 2 shown]
	v_fma_f64 v[56:57], v[4:5], v[40:41], v[56:57]
	v_fma_f64 v[75:76], v[6:7], v[44:45], v[75:76]
	;; [unrolled: 1-line block ×8, first 2 shown]
	v_fma_f64 v[59:60], v[59:60], v[40:41], -v[89:90]
	v_fma_f64 v[61:62], v[61:62], v[44:45], -v[91:92]
	;; [unrolled: 1-line block ×8, first 2 shown]
	ds_read2_b64 v[4:7], v136 offset1:51
	ds_read2_b64 v[12:15], v136 offset0:102 offset1:153
	ds_read2_b64 v[20:23], v136 offset0:204 offset1:255
	;; [unrolled: 1-line block ×3, first 2 shown]
	s_waitcnt lgkmcnt(0)
	s_barrier
	buffer_gl0_inv
	v_add_f64 v[48:49], v[0:1], -v[56:57]
	v_add_f64 v[50:51], v[2:3], -v[75:76]
	v_add_f64 v[52:53], v[8:9], -v[77:78]
	v_add_f64 v[54:55], v[10:11], -v[79:80]
	v_add_f64 v[56:57], v[16:17], -v[81:82]
	v_add_f64 v[67:68], v[18:19], -v[83:84]
	v_add_f64 v[69:70], v[24:25], -v[85:86]
	v_add_f64 v[71:72], v[26:27], -v[87:88]
	v_add_f64 v[59:60], v[4:5], -v[59:60]
	v_add_f64 v[61:62], v[6:7], -v[61:62]
	v_add_f64 v[63:64], v[12:13], -v[63:64]
	v_add_f64 v[65:66], v[14:15], -v[65:66]
	v_add_f64 v[40:41], v[20:21], -v[40:41]
	v_add_f64 v[42:43], v[22:23], -v[42:43]
	v_add_f64 v[44:45], v[28:29], -v[44:45]
	v_add_f64 v[46:47], v[30:31], -v[46:47]
	v_fma_f64 v[0:1], v[0:1], 2.0, -v[48:49]
	v_fma_f64 v[2:3], v[2:3], 2.0, -v[50:51]
	;; [unrolled: 1-line block ×8, first 2 shown]
	ds_write2_b64 v136, v[48:49], v[50:51] offset0:204 offset1:255
	ds_write2_b64 v38, v[52:53], v[54:55] offset0:50 offset1:101
	;; [unrolled: 1-line block ×4, first 2 shown]
	ds_write2_b64 v136, v[0:1], v[2:3] offset1:51
	ds_write2_b64 v136, v[8:9], v[10:11] offset0:102 offset1:153
	ds_write2_b64 v38, v[16:17], v[18:19] offset0:152 offset1:203
	;; [unrolled: 1-line block ×3, first 2 shown]
	v_fma_f64 v[73:74], v[4:5], 2.0, -v[59:60]
	v_fma_f64 v[75:76], v[6:7], 2.0, -v[61:62]
	;; [unrolled: 1-line block ×8, first 2 shown]
	s_waitcnt lgkmcnt(0)
	s_barrier
	buffer_gl0_inv
	ds_read2_b64 v[12:15], v136 offset1:51
	ds_read2_b64 v[20:23], v38 offset0:152 offset1:203
	ds_read2_b64 v[4:7], v136 offset0:102 offset1:153
	;; [unrolled: 1-line block ×7, first 2 shown]
	s_waitcnt lgkmcnt(0)
	s_barrier
	buffer_gl0_inv
	ds_write2_b64 v136, v[73:74], v[75:76] offset1:51
	ds_write2_b64 v136, v[59:60], v[61:62] offset0:204 offset1:255
	ds_write2_b64 v136, v[77:78], v[79:80] offset0:102 offset1:153
	ds_write2_b64 v38, v[63:64], v[65:66] offset0:50 offset1:101
	ds_write2_b64 v38, v[81:82], v[83:84] offset0:152 offset1:203
	ds_write2_b64 v58, v[40:41], v[42:43] offset0:100 offset1:151
	ds_write2_b64 v39, v[85:86], v[87:88] offset0:126 offset1:177
	ds_write2_b64 v58, v[44:45], v[46:47] offset0:202 offset1:253
	s_waitcnt lgkmcnt(0)
	s_barrier
	buffer_gl0_inv
	s_and_saveexec_b32 s0, vcc_lo
	s_cbranch_execz .LBB0_25
; %bb.24:
	v_add_co_u32 v56, vcc_lo, 0x660, v34
	v_add_co_ci_u32_e32 v57, vcc_lo, 0, v35, vcc_lo
	v_add_co_u32 v46, vcc_lo, 0x2800, v34
	v_add_co_ci_u32_e32 v47, vcc_lo, 0, v35, vcc_lo
	;; [unrolled: 2-line block ×4, first 2 shown]
	s_clause 0x3
	global_load_dwordx4 v[38:41], v[46:47], off offset:912
	global_load_dwordx4 v[42:45], v[46:47], off offset:96
	;; [unrolled: 1-line block ×4, first 2 shown]
	v_add_co_u32 v58, vcc_lo, 0x1800, v54
	v_add_co_ci_u32_e32 v59, vcc_lo, 0, v55, vcc_lo
	v_add_co_u32 v36, vcc_lo, 0x1800, v36
	v_add_co_ci_u32_e32 v37, vcc_lo, 0, v37, vcc_lo
	;; [unrolled: 2-line block ×4, first 2 shown]
	s_clause 0x3
	global_load_dwordx4 v[34:37], v[36:37], off offset:112
	global_load_dwordx4 v[54:57], v[54:55], off offset:112
	;; [unrolled: 1-line block ×4, first 2 shown]
	v_add_nc_u32_e32 v94, 0x800, v136
	v_add_nc_u32_e32 v86, 0x1000, v136
	;; [unrolled: 1-line block ×3, first 2 shown]
	ds_read2_b64 v[66:69], v136 offset0:204 offset1:255
	ds_read2_b64 v[70:73], v136 offset0:102 offset1:153
	ds_read2_b64 v[74:77], v136 offset1:51
	ds_read2_b64 v[78:81], v94 offset0:50 offset1:101
	ds_read2_b64 v[82:85], v86 offset0:202 offset1:253
	;; [unrolled: 1-line block ×5, first 2 shown]
	v_mul_hi_u32 v100, 0xa0a0a0a1, v137
	v_add_co_u32 v130, vcc_lo, s2, v126
	v_mul_hi_u32 v101, 0xa0a0a0a1, v134
	v_add_co_ci_u32_e32 v131, vcc_lo, s3, v127, vcc_lo
	v_add_co_u32 v98, vcc_lo, v130, v32
	v_lshrrev_b32_e32 v32, 8, v100
	v_add_co_ci_u32_e32 v99, vcc_lo, v131, v33, vcc_lo
	v_lshrrev_b32_e32 v108, 8, v101
	v_mul_hi_u32 v102, 0xa0a0a0a1, v135
	v_mad_u32_u24 v124, 0x198, v32, v137
	v_add_co_u32 v100, vcc_lo, 0x1800, v98
	v_add_co_ci_u32_e32 v101, vcc_lo, 0, v99, vcc_lo
	v_lshlrev_b64 v[32:33], 4, v[124:125]
	v_mad_u32_u24 v124, 0x198, v108, v134
	v_lshrrev_b32_e32 v132, 8, v102
	v_add_co_u32 v102, vcc_lo, 0x800, v98
	v_add_co_ci_u32_e32 v103, vcc_lo, 0, v99, vcc_lo
	v_add_co_u32 v104, vcc_lo, 0x2000, v98
	v_add_co_ci_u32_e32 v105, vcc_lo, 0, v99, vcc_lo
	;; [unrolled: 2-line block ×4, first 2 shown]
	v_lshlrev_b64 v[128:129], 4, v[124:125]
	v_mad_u32_u24 v124, 0x198, v132, v135
	s_waitcnt vmcnt(7)
	v_mul_f64 v[110:111], v[28:29], v[40:41]
	s_waitcnt lgkmcnt(3)
	v_mul_f64 v[40:41], v[82:83], v[40:41]
	s_waitcnt vmcnt(5)
	v_mul_f64 v[108:109], v[30:31], v[48:49]
	v_mul_f64 v[48:49], v[84:85], v[48:49]
	;; [unrolled: 1-line block ×3, first 2 shown]
	s_waitcnt lgkmcnt(2)
	v_mul_f64 v[44:45], v[88:89], v[44:45]
	s_waitcnt vmcnt(4)
	v_mul_f64 v[114:115], v[24:25], v[52:53]
	v_mul_f64 v[52:53], v[86:87], v[52:53]
	s_waitcnt vmcnt(3)
	v_mul_f64 v[116:117], v[22:23], v[36:37]
	s_waitcnt lgkmcnt(0)
	v_mul_f64 v[36:37], v[96:97], v[36:37]
	s_waitcnt vmcnt(2)
	v_mul_f64 v[118:119], v[20:21], v[56:57]
	v_mul_f64 v[56:57], v[94:95], v[56:57]
	s_waitcnt vmcnt(1)
	v_mul_f64 v[120:121], v[18:19], v[60:61]
	s_waitcnt vmcnt(0)
	v_mul_f64 v[122:123], v[16:17], v[64:65]
	v_mul_f64 v[64:65], v[90:91], v[64:65]
	;; [unrolled: 1-line block ×3, first 2 shown]
	v_fma_f64 v[84:85], v[46:47], v[84:85], -v[108:109]
	v_fma_f64 v[30:31], v[30:31], v[46:47], v[48:49]
	v_fma_f64 v[46:47], v[38:39], v[82:83], -v[110:111]
	v_fma_f64 v[48:49], v[28:29], v[38:39], v[40:41]
	;; [unrolled: 2-line block ×4, first 2 shown]
	v_add_co_u32 v86, vcc_lo, v130, v32
	v_add_co_ci_u32_e32 v87, vcc_lo, v131, v33, vcc_lo
	v_add_co_u32 v88, vcc_lo, 0x1800, v86
	v_fma_f64 v[36:37], v[22:23], v[34:35], v[36:37]
	v_fma_f64 v[42:43], v[54:55], v[94:95], -v[118:119]
	v_fma_f64 v[20:21], v[20:21], v[54:55], v[56:57]
	v_fma_f64 v[40:41], v[34:35], v[96:97], -v[116:117]
	v_fma_f64 v[44:45], v[58:59], v[92:93], -v[120:121]
	v_fma_f64 v[50:51], v[62:63], v[90:91], -v[122:123]
	v_fma_f64 v[52:53], v[16:17], v[62:63], v[64:65]
	v_fma_f64 v[54:55], v[18:19], v[58:59], v[60:61]
	v_add_f64 v[16:17], v[2:3], -v[30:31]
	v_add_f64 v[22:23], v[78:79], -v[46:47]
	;; [unrolled: 1-line block ×4, first 2 shown]
	v_lshlrev_b64 v[56:57], 4, v[124:125]
	v_add_f64 v[30:31], v[66:67], -v[38:39]
	v_add_f64 v[28:29], v[8:9], -v[24:25]
	;; [unrolled: 1-line block ×3, first 2 shown]
	v_add_co_ci_u32_e32 v89, vcc_lo, 0, v87, vcc_lo
	v_add_co_u32 v82, vcc_lo, v130, v128
	v_add_co_ci_u32_e32 v83, vcc_lo, v131, v129, vcc_lo
	v_add_f64 v[32:33], v[14:15], -v[36:37]
	v_add_f64 v[38:39], v[74:75], -v[42:43]
	;; [unrolled: 1-line block ×9, first 2 shown]
	v_add_co_u32 v84, vcc_lo, v130, v56
	v_fma_f64 v[54:55], v[68:69], 2.0, -v[26:27]
	v_add_co_ci_u32_e32 v85, vcc_lo, v131, v57, vcc_lo
	v_fma_f64 v[58:59], v[66:67], 2.0, -v[30:31]
	v_fma_f64 v[56:57], v[8:9], 2.0, -v[28:29]
	;; [unrolled: 1-line block ×15, first 2 shown]
	v_add_co_u32 v0, vcc_lo, 0x1800, v82
	v_add_co_ci_u32_e32 v1, vcc_lo, 0, v83, vcc_lo
	v_add_co_u32 v2, vcc_lo, 0x1800, v84
	v_add_co_ci_u32_e32 v3, vcc_lo, 0, v85, vcc_lo
	global_store_dwordx4 v[100:101], v[36:39], off offset:384
	global_store_dwordx4 v[100:101], v[32:35], off offset:1200
	;; [unrolled: 1-line block ×5, first 2 shown]
	global_store_dwordx4 v[98:99], v[12:15], off
	global_store_dwordx4 v[98:99], v[60:63], off offset:816
	global_store_dwordx4 v[98:99], v[68:71], off offset:1632
	;; [unrolled: 1-line block ×3, first 2 shown]
	global_store_dwordx4 v[86:87], v[56:59], off
	global_store_dwordx4 v[82:83], v[52:55], off
	global_store_dwordx4 v[0:1], v[24:27], off offset:384
	global_store_dwordx4 v[106:107], v[4:7], off offset:800
	;; [unrolled: 1-line block ×3, first 2 shown]
	global_store_dwordx4 v[84:85], v[48:51], off
	global_store_dwordx4 v[2:3], v[16:19], off offset:384
.LBB0_25:
	s_endpgm
	.section	.rodata,"a",@progbits
	.p2align	6, 0x0
	.amdhsa_kernel fft_rtc_back_len816_factors_17_2_3_2_2_2_wgs_51_tpt_51_halfLds_dp_ip_CI_unitstride_sbrr_dirReg
		.amdhsa_group_segment_fixed_size 0
		.amdhsa_private_segment_fixed_size 0
		.amdhsa_kernarg_size 88
		.amdhsa_user_sgpr_count 6
		.amdhsa_user_sgpr_private_segment_buffer 1
		.amdhsa_user_sgpr_dispatch_ptr 0
		.amdhsa_user_sgpr_queue_ptr 0
		.amdhsa_user_sgpr_kernarg_segment_ptr 1
		.amdhsa_user_sgpr_dispatch_id 0
		.amdhsa_user_sgpr_flat_scratch_init 0
		.amdhsa_user_sgpr_private_segment_size 0
		.amdhsa_wavefront_size32 1
		.amdhsa_uses_dynamic_stack 0
		.amdhsa_system_sgpr_private_segment_wavefront_offset 0
		.amdhsa_system_sgpr_workgroup_id_x 1
		.amdhsa_system_sgpr_workgroup_id_y 0
		.amdhsa_system_sgpr_workgroup_id_z 0
		.amdhsa_system_sgpr_workgroup_info 0
		.amdhsa_system_vgpr_workitem_id 0
		.amdhsa_next_free_vgpr 254
		.amdhsa_next_free_sgpr 56
		.amdhsa_reserve_vcc 1
		.amdhsa_reserve_flat_scratch 0
		.amdhsa_float_round_mode_32 0
		.amdhsa_float_round_mode_16_64 0
		.amdhsa_float_denorm_mode_32 3
		.amdhsa_float_denorm_mode_16_64 3
		.amdhsa_dx10_clamp 1
		.amdhsa_ieee_mode 1
		.amdhsa_fp16_overflow 0
		.amdhsa_workgroup_processor_mode 1
		.amdhsa_memory_ordered 1
		.amdhsa_forward_progress 0
		.amdhsa_shared_vgpr_count 0
		.amdhsa_exception_fp_ieee_invalid_op 0
		.amdhsa_exception_fp_denorm_src 0
		.amdhsa_exception_fp_ieee_div_zero 0
		.amdhsa_exception_fp_ieee_overflow 0
		.amdhsa_exception_fp_ieee_underflow 0
		.amdhsa_exception_fp_ieee_inexact 0
		.amdhsa_exception_int_div_zero 0
	.end_amdhsa_kernel
	.text
.Lfunc_end0:
	.size	fft_rtc_back_len816_factors_17_2_3_2_2_2_wgs_51_tpt_51_halfLds_dp_ip_CI_unitstride_sbrr_dirReg, .Lfunc_end0-fft_rtc_back_len816_factors_17_2_3_2_2_2_wgs_51_tpt_51_halfLds_dp_ip_CI_unitstride_sbrr_dirReg
                                        ; -- End function
	.section	.AMDGPU.csdata,"",@progbits
; Kernel info:
; codeLenInByte = 15524
; NumSgprs: 58
; NumVgprs: 254
; ScratchSize: 0
; MemoryBound: 1
; FloatMode: 240
; IeeeMode: 1
; LDSByteSize: 0 bytes/workgroup (compile time only)
; SGPRBlocks: 7
; VGPRBlocks: 31
; NumSGPRsForWavesPerEU: 58
; NumVGPRsForWavesPerEU: 254
; Occupancy: 4
; WaveLimiterHint : 1
; COMPUTE_PGM_RSRC2:SCRATCH_EN: 0
; COMPUTE_PGM_RSRC2:USER_SGPR: 6
; COMPUTE_PGM_RSRC2:TRAP_HANDLER: 0
; COMPUTE_PGM_RSRC2:TGID_X_EN: 1
; COMPUTE_PGM_RSRC2:TGID_Y_EN: 0
; COMPUTE_PGM_RSRC2:TGID_Z_EN: 0
; COMPUTE_PGM_RSRC2:TIDIG_COMP_CNT: 0
	.text
	.p2alignl 6, 3214868480
	.fill 48, 4, 3214868480
	.type	__hip_cuid_32eb470825d192d7,@object ; @__hip_cuid_32eb470825d192d7
	.section	.bss,"aw",@nobits
	.globl	__hip_cuid_32eb470825d192d7
__hip_cuid_32eb470825d192d7:
	.byte	0                               ; 0x0
	.size	__hip_cuid_32eb470825d192d7, 1

	.ident	"AMD clang version 19.0.0git (https://github.com/RadeonOpenCompute/llvm-project roc-6.4.0 25133 c7fe45cf4b819c5991fe208aaa96edf142730f1d)"
	.section	".note.GNU-stack","",@progbits
	.addrsig
	.addrsig_sym __hip_cuid_32eb470825d192d7
	.amdgpu_metadata
---
amdhsa.kernels:
  - .args:
      - .actual_access:  read_only
        .address_space:  global
        .offset:         0
        .size:           8
        .value_kind:     global_buffer
      - .offset:         8
        .size:           8
        .value_kind:     by_value
      - .actual_access:  read_only
        .address_space:  global
        .offset:         16
        .size:           8
        .value_kind:     global_buffer
      - .actual_access:  read_only
        .address_space:  global
        .offset:         24
        .size:           8
        .value_kind:     global_buffer
      - .offset:         32
        .size:           8
        .value_kind:     by_value
      - .actual_access:  read_only
        .address_space:  global
        .offset:         40
        .size:           8
        .value_kind:     global_buffer
      - .actual_access:  read_only
        .address_space:  global
        .offset:         48
        .size:           8
        .value_kind:     global_buffer
      - .offset:         56
        .size:           4
        .value_kind:     by_value
      - .actual_access:  read_only
        .address_space:  global
        .offset:         64
        .size:           8
        .value_kind:     global_buffer
      - .actual_access:  read_only
        .address_space:  global
        .offset:         72
        .size:           8
        .value_kind:     global_buffer
      - .address_space:  global
        .offset:         80
        .size:           8
        .value_kind:     global_buffer
    .group_segment_fixed_size: 0
    .kernarg_segment_align: 8
    .kernarg_segment_size: 88
    .language:       OpenCL C
    .language_version:
      - 2
      - 0
    .max_flat_workgroup_size: 51
    .name:           fft_rtc_back_len816_factors_17_2_3_2_2_2_wgs_51_tpt_51_halfLds_dp_ip_CI_unitstride_sbrr_dirReg
    .private_segment_fixed_size: 0
    .sgpr_count:     58
    .sgpr_spill_count: 0
    .symbol:         fft_rtc_back_len816_factors_17_2_3_2_2_2_wgs_51_tpt_51_halfLds_dp_ip_CI_unitstride_sbrr_dirReg.kd
    .uniform_work_group_size: 1
    .uses_dynamic_stack: false
    .vgpr_count:     254
    .vgpr_spill_count: 0
    .wavefront_size: 32
    .workgroup_processor_mode: 1
amdhsa.target:   amdgcn-amd-amdhsa--gfx1030
amdhsa.version:
  - 1
  - 2
...

	.end_amdgpu_metadata
